;; amdgpu-corpus repo=ROCm/rocFFT kind=compiled arch=gfx1030 opt=O3
	.text
	.amdgcn_target "amdgcn-amd-amdhsa--gfx1030"
	.amdhsa_code_object_version 6
	.protected	fft_rtc_fwd_len480_factors_10_8_6_wgs_64_tpt_16_halfLds_half_ip_CI_sbrr_dirReg ; -- Begin function fft_rtc_fwd_len480_factors_10_8_6_wgs_64_tpt_16_halfLds_half_ip_CI_sbrr_dirReg
	.globl	fft_rtc_fwd_len480_factors_10_8_6_wgs_64_tpt_16_halfLds_half_ip_CI_sbrr_dirReg
	.p2align	8
	.type	fft_rtc_fwd_len480_factors_10_8_6_wgs_64_tpt_16_halfLds_half_ip_CI_sbrr_dirReg,@function
fft_rtc_fwd_len480_factors_10_8_6_wgs_64_tpt_16_halfLds_half_ip_CI_sbrr_dirReg: ; @fft_rtc_fwd_len480_factors_10_8_6_wgs_64_tpt_16_halfLds_half_ip_CI_sbrr_dirReg
; %bb.0:
	s_clause 0x2
	s_load_dwordx2 s[14:15], s[4:5], 0x18
	s_load_dwordx4 s[8:11], s[4:5], 0x0
	s_load_dwordx2 s[12:13], s[4:5], 0x50
	v_lshrrev_b32_e32 v9, 4, v0
	v_mov_b32_e32 v3, 0
	v_mov_b32_e32 v1, 0
	;; [unrolled: 1-line block ×3, first 2 shown]
	v_lshl_or_b32 v5, s6, 2, v9
	v_mov_b32_e32 v6, v3
	s_waitcnt lgkmcnt(0)
	s_load_dwordx2 s[2:3], s[14:15], 0x0
	v_cmp_lt_u64_e64 s0, s[10:11], 2
	s_and_b32 vcc_lo, exec_lo, s0
	s_cbranch_vccnz .LBB0_8
; %bb.1:
	s_load_dwordx2 s[0:1], s[4:5], 0x10
	v_mov_b32_e32 v1, 0
	s_add_u32 s6, s14, 8
	v_mov_b32_e32 v2, 0
	s_addc_u32 s7, s15, 0
	s_mov_b64 s[18:19], 1
	s_waitcnt lgkmcnt(0)
	s_add_u32 s16, s0, 8
	s_addc_u32 s17, s1, 0
.LBB0_2:                                ; =>This Inner Loop Header: Depth=1
	s_load_dwordx2 s[20:21], s[16:17], 0x0
                                        ; implicit-def: $vgpr7_vgpr8
	s_mov_b32 s0, exec_lo
	s_waitcnt lgkmcnt(0)
	v_or_b32_e32 v4, s21, v6
	v_cmpx_ne_u64_e32 0, v[3:4]
	s_xor_b32 s1, exec_lo, s0
	s_cbranch_execz .LBB0_4
; %bb.3:                                ;   in Loop: Header=BB0_2 Depth=1
	v_cvt_f32_u32_e32 v4, s20
	v_cvt_f32_u32_e32 v7, s21
	s_sub_u32 s0, 0, s20
	s_subb_u32 s22, 0, s21
	v_fmac_f32_e32 v4, 0x4f800000, v7
	v_rcp_f32_e32 v4, v4
	v_mul_f32_e32 v4, 0x5f7ffffc, v4
	v_mul_f32_e32 v7, 0x2f800000, v4
	v_trunc_f32_e32 v7, v7
	v_fmac_f32_e32 v4, 0xcf800000, v7
	v_cvt_u32_f32_e32 v7, v7
	v_cvt_u32_f32_e32 v4, v4
	v_mul_lo_u32 v8, s0, v7
	v_mul_hi_u32 v10, s0, v4
	v_mul_lo_u32 v11, s22, v4
	v_add_nc_u32_e32 v8, v10, v8
	v_mul_lo_u32 v10, s0, v4
	v_add_nc_u32_e32 v8, v8, v11
	v_mul_hi_u32 v11, v4, v10
	v_mul_lo_u32 v12, v4, v8
	v_mul_hi_u32 v13, v4, v8
	v_mul_hi_u32 v14, v7, v10
	v_mul_lo_u32 v10, v7, v10
	v_mul_hi_u32 v15, v7, v8
	v_mul_lo_u32 v8, v7, v8
	v_add_co_u32 v11, vcc_lo, v11, v12
	v_add_co_ci_u32_e32 v12, vcc_lo, 0, v13, vcc_lo
	v_add_co_u32 v10, vcc_lo, v11, v10
	v_add_co_ci_u32_e32 v10, vcc_lo, v12, v14, vcc_lo
	v_add_co_ci_u32_e32 v11, vcc_lo, 0, v15, vcc_lo
	v_add_co_u32 v8, vcc_lo, v10, v8
	v_add_co_ci_u32_e32 v10, vcc_lo, 0, v11, vcc_lo
	v_add_co_u32 v4, vcc_lo, v4, v8
	v_add_co_ci_u32_e32 v7, vcc_lo, v7, v10, vcc_lo
	v_mul_hi_u32 v8, s0, v4
	v_mul_lo_u32 v11, s22, v4
	v_mul_lo_u32 v10, s0, v7
	v_add_nc_u32_e32 v8, v8, v10
	v_mul_lo_u32 v10, s0, v4
	v_add_nc_u32_e32 v8, v8, v11
	v_mul_hi_u32 v11, v4, v10
	v_mul_lo_u32 v12, v4, v8
	v_mul_hi_u32 v13, v4, v8
	v_mul_hi_u32 v14, v7, v10
	v_mul_lo_u32 v10, v7, v10
	v_mul_hi_u32 v15, v7, v8
	v_mul_lo_u32 v8, v7, v8
	v_add_co_u32 v11, vcc_lo, v11, v12
	v_add_co_ci_u32_e32 v12, vcc_lo, 0, v13, vcc_lo
	v_add_co_u32 v10, vcc_lo, v11, v10
	v_add_co_ci_u32_e32 v10, vcc_lo, v12, v14, vcc_lo
	v_add_co_ci_u32_e32 v11, vcc_lo, 0, v15, vcc_lo
	v_add_co_u32 v8, vcc_lo, v10, v8
	v_add_co_ci_u32_e32 v10, vcc_lo, 0, v11, vcc_lo
	v_add_co_u32 v4, vcc_lo, v4, v8
	v_add_co_ci_u32_e32 v12, vcc_lo, v7, v10, vcc_lo
	v_mul_hi_u32 v14, v5, v4
	v_mad_u64_u32 v[10:11], null, v6, v4, 0
	v_mad_u64_u32 v[7:8], null, v5, v12, 0
	;; [unrolled: 1-line block ×3, first 2 shown]
	v_add_co_u32 v4, vcc_lo, v14, v7
	v_add_co_ci_u32_e32 v7, vcc_lo, 0, v8, vcc_lo
	v_add_co_u32 v4, vcc_lo, v4, v10
	v_add_co_ci_u32_e32 v4, vcc_lo, v7, v11, vcc_lo
	v_add_co_ci_u32_e32 v7, vcc_lo, 0, v13, vcc_lo
	v_add_co_u32 v4, vcc_lo, v4, v12
	v_add_co_ci_u32_e32 v10, vcc_lo, 0, v7, vcc_lo
	v_mul_lo_u32 v11, s21, v4
	v_mad_u64_u32 v[7:8], null, s20, v4, 0
	v_mul_lo_u32 v12, s20, v10
	v_sub_co_u32 v7, vcc_lo, v5, v7
	v_add3_u32 v8, v8, v12, v11
	v_sub_nc_u32_e32 v11, v6, v8
	v_subrev_co_ci_u32_e64 v11, s0, s21, v11, vcc_lo
	v_add_co_u32 v12, s0, v4, 2
	v_add_co_ci_u32_e64 v13, s0, 0, v10, s0
	v_sub_co_u32 v14, s0, v7, s20
	v_sub_co_ci_u32_e32 v8, vcc_lo, v6, v8, vcc_lo
	v_subrev_co_ci_u32_e64 v11, s0, 0, v11, s0
	v_cmp_le_u32_e32 vcc_lo, s20, v14
	v_cmp_eq_u32_e64 s0, s21, v8
	v_cndmask_b32_e64 v14, 0, -1, vcc_lo
	v_cmp_le_u32_e32 vcc_lo, s21, v11
	v_cndmask_b32_e64 v15, 0, -1, vcc_lo
	v_cmp_le_u32_e32 vcc_lo, s20, v7
	;; [unrolled: 2-line block ×3, first 2 shown]
	v_cndmask_b32_e64 v16, 0, -1, vcc_lo
	v_cmp_eq_u32_e32 vcc_lo, s21, v11
	v_cndmask_b32_e64 v7, v16, v7, s0
	v_cndmask_b32_e32 v11, v15, v14, vcc_lo
	v_add_co_u32 v14, vcc_lo, v4, 1
	v_add_co_ci_u32_e32 v15, vcc_lo, 0, v10, vcc_lo
	v_cmp_ne_u32_e32 vcc_lo, 0, v11
	v_cndmask_b32_e32 v8, v15, v13, vcc_lo
	v_cndmask_b32_e32 v11, v14, v12, vcc_lo
	v_cmp_ne_u32_e32 vcc_lo, 0, v7
	v_cndmask_b32_e32 v8, v10, v8, vcc_lo
	v_cndmask_b32_e32 v7, v4, v11, vcc_lo
.LBB0_4:                                ;   in Loop: Header=BB0_2 Depth=1
	s_andn2_saveexec_b32 s0, s1
	s_cbranch_execz .LBB0_6
; %bb.5:                                ;   in Loop: Header=BB0_2 Depth=1
	v_cvt_f32_u32_e32 v4, s20
	s_sub_i32 s1, 0, s20
	v_rcp_iflag_f32_e32 v4, v4
	v_mul_f32_e32 v4, 0x4f7ffffe, v4
	v_cvt_u32_f32_e32 v4, v4
	v_mul_lo_u32 v7, s1, v4
	v_mul_hi_u32 v7, v4, v7
	v_add_nc_u32_e32 v4, v4, v7
	v_mul_hi_u32 v4, v5, v4
	v_mul_lo_u32 v7, v4, s20
	v_add_nc_u32_e32 v8, 1, v4
	v_sub_nc_u32_e32 v7, v5, v7
	v_subrev_nc_u32_e32 v10, s20, v7
	v_cmp_le_u32_e32 vcc_lo, s20, v7
	v_cndmask_b32_e32 v7, v7, v10, vcc_lo
	v_cndmask_b32_e32 v4, v4, v8, vcc_lo
	v_cmp_le_u32_e32 vcc_lo, s20, v7
	v_add_nc_u32_e32 v8, 1, v4
	v_cndmask_b32_e32 v7, v4, v8, vcc_lo
	v_mov_b32_e32 v8, v3
.LBB0_6:                                ;   in Loop: Header=BB0_2 Depth=1
	s_or_b32 exec_lo, exec_lo, s0
	s_load_dwordx2 s[0:1], s[6:7], 0x0
	v_mul_lo_u32 v4, v8, s20
	v_mul_lo_u32 v12, v7, s21
	v_mad_u64_u32 v[10:11], null, v7, s20, 0
	s_add_u32 s18, s18, 1
	s_addc_u32 s19, s19, 0
	s_add_u32 s6, s6, 8
	s_addc_u32 s7, s7, 0
	;; [unrolled: 2-line block ×3, first 2 shown]
	v_add3_u32 v4, v11, v12, v4
	v_sub_co_u32 v5, vcc_lo, v5, v10
	v_sub_co_ci_u32_e32 v4, vcc_lo, v6, v4, vcc_lo
	s_waitcnt lgkmcnt(0)
	v_mul_lo_u32 v6, s1, v5
	v_mul_lo_u32 v4, s0, v4
	v_mad_u64_u32 v[1:2], null, s0, v5, v[1:2]
	v_cmp_ge_u64_e64 s0, s[18:19], s[10:11]
	s_and_b32 vcc_lo, exec_lo, s0
	v_add3_u32 v2, v6, v2, v4
	s_cbranch_vccnz .LBB0_9
; %bb.7:                                ;   in Loop: Header=BB0_2 Depth=1
	v_mov_b32_e32 v5, v7
	v_mov_b32_e32 v6, v8
	s_branch .LBB0_2
.LBB0_8:
	v_mov_b32_e32 v8, v6
	v_mov_b32_e32 v7, v5
.LBB0_9:
	s_lshl_b64 s[0:1], s[10:11], 3
	v_and_b32_e32 v46, 15, v0
	s_add_u32 s0, s14, s0
	s_addc_u32 s1, s15, s1
                                        ; implicit-def: $vgpr48
                                        ; implicit-def: $vgpr49
                                        ; implicit-def: $vgpr50
	s_load_dwordx2 s[0:1], s[0:1], 0x0
	s_load_dwordx2 s[4:5], s[4:5], 0x20
	v_or_b32_e32 v40, 16, v46
	v_or_b32_e32 v34, 32, v46
	;; [unrolled: 1-line block ×3, first 2 shown]
	s_waitcnt lgkmcnt(0)
	v_mul_lo_u32 v3, s0, v8
	v_mul_lo_u32 v4, s1, v7
	v_mad_u64_u32 v[0:1], null, s0, v7, v[1:2]
	v_cmp_gt_u64_e32 vcc_lo, s[4:5], v[7:8]
	v_cmp_le_u64_e64 s0, s[4:5], v[7:8]
	v_add3_u32 v1, v4, v1, v3
	s_and_saveexec_b32 s1, s0
	s_xor_b32 s0, exec_lo, s1
; %bb.10:
	v_or_b32_e32 v48, 16, v46
	v_or_b32_e32 v49, 32, v46
	;; [unrolled: 1-line block ×3, first 2 shown]
; %bb.11:
	s_or_saveexec_b32 s1, s0
	v_lshlrev_b64 v[16:17], 2, v[0:1]
	v_or_b32_e32 v39, 0x60, v46
	v_or_b32_e32 v21, 0x90, v46
	v_or_b32_e32 v32, 0xc0, v46
	v_or_b32_e32 v44, 0xf0, v46
	v_or_b32_e32 v25, 0x120, v46
	v_or_b32_e32 v36, 0x150, v46
	v_or_b32_e32 v18, 0x180, v46
	v_or_b32_e32 v30, 0x1b0, v46
	v_or_b32_e32 v23, 64, v46
	v_or_b32_e32 v35, 0x70, v46
	v_or_b32_e32 v45, 0xa0, v46
	v_or_b32_e32 v27, 0xd0, v46
	v_or_b32_e32 v38, 0x100, v46
	v_or_b32_e32 v20, 0x130, v46
	v_or_b32_e32 v31, 0x160, v46
	v_or_b32_e32 v42, 0x190, v46
	v_or_b32_e32 v24, 0x1c0, v46
	v_or_b32_e32 v47, 0x50, v46
	v_or_b32_e32 v29, 0x80, v46
	v_or_b32_e32 v41, 0xb0, v46
	v_or_b32_e32 v22, 0xe0, v46
	v_or_b32_e32 v33, 0x110, v46
	v_or_b32_e32 v43, 0x140, v46
	v_or_b32_e32 v26, 0x170, v46
	v_or_b32_e32 v37, 0x1a0, v46
	v_or_b32_e32 v19, 0x1d0, v46
                                        ; implicit-def: $vgpr95
                                        ; implicit-def: $vgpr51
                                        ; implicit-def: $vgpr104
                                        ; implicit-def: $vgpr5
                                        ; implicit-def: $vgpr107
                                        ; implicit-def: $vgpr3
                                        ; implicit-def: $vgpr105
                                        ; implicit-def: $vgpr2
                                        ; implicit-def: $vgpr103
                                        ; implicit-def: $vgpr7
                                        ; implicit-def: $vgpr79
                                        ; implicit-def: $vgpr52
                                        ; implicit-def: $vgpr84
                                        ; implicit-def: $vgpr15
                                        ; implicit-def: $vgpr85
                                        ; implicit-def: $vgpr13
                                        ; implicit-def: $vgpr86
                                        ; implicit-def: $vgpr8
                                        ; implicit-def: $vgpr87
                                        ; implicit-def: $vgpr69
                                        ; implicit-def: $vgpr65
                                        ; implicit-def: $vgpr53
                                        ; implicit-def: $vgpr70
                                        ; implicit-def: $vgpr12
                                        ; implicit-def: $vgpr71
                                        ; implicit-def: $vgpr63
                                        ; implicit-def: $vgpr72
                                        ; implicit-def: $vgpr68
                                        ; implicit-def: $vgpr73
                                        ; implicit-def: $vgpr74
                                        ; implicit-def: $vgpr67
                                        ; implicit-def: $vgpr66
                                        ; implicit-def: $vgpr64
                                        ; implicit-def: $vgpr62
                                        ; implicit-def: $vgpr54
                                        ; implicit-def: $vgpr10
                                        ; implicit-def: $vgpr11
                                        ; implicit-def: $vgpr83
                                        ; implicit-def: $vgpr14
                                        ; implicit-def: $vgpr56
                                        ; implicit-def: $vgpr1
                                        ; implicit-def: $vgpr4
                                        ; implicit-def: $vgpr0
                                        ; implicit-def: $vgpr6
                                        ; implicit-def: $vgpr55
	s_xor_b32 exec_lo, exec_lo, s1
	s_cbranch_execz .LBB0_13
; %bb.12:
	v_mad_u64_u32 v[0:1], null, s2, v46, 0
	v_mad_u64_u32 v[2:3], null, s2, v28, 0
	;; [unrolled: 1-line block ×4, first 2 shown]
	v_add_co_u32 v77, s0, s12, v16
	v_mad_u64_u32 v[6:7], null, s3, v46, v[1:2]
	v_mov_b32_e32 v1, v3
	v_mad_u64_u32 v[7:8], null, s2, v21, 0
	v_mov_b32_e32 v3, v5
	v_add_co_ci_u32_e64 v78, s0, s13, v17, s0
	v_mad_u64_u32 v[12:13], null, s3, v28, v[1:2]
	v_mov_b32_e32 v1, v6
	v_mad_u64_u32 v[13:14], null, s3, v39, v[3:4]
	v_mov_b32_e32 v5, v8
	v_mov_b32_e32 v6, v11
	v_lshlrev_b64 v[0:1], 2, v[0:1]
	v_mov_b32_e32 v3, v12
	v_mad_u64_u32 v[54:55], null, s2, v30, 0
	v_mad_u64_u32 v[11:12], null, s3, v21, v[5:6]
	v_lshlrev_b64 v[2:3], 2, v[2:3]
	v_add_co_u32 v0, s0, v77, v0
	v_mov_b32_e32 v5, v13
	v_add_co_ci_u32_e64 v1, s0, v78, v1, s0
	v_add_co_u32 v12, s0, v77, v2
	v_add_co_ci_u32_e64 v13, s0, v78, v3, s0
	v_lshlrev_b64 v[2:3], 2, v[4:5]
	v_mov_b32_e32 v8, v11
	global_load_dword v51, v[0:1], off
	v_mad_u64_u32 v[0:1], null, s2, v44, 0
	v_mad_u64_u32 v[4:5], null, s3, v32, v[6:7]
	v_add_co_u32 v14, s0, v77, v2
	v_add_co_ci_u32_e64 v15, s0, v78, v3, s0
	v_lshlrev_b64 v[2:3], 2, v[7:8]
	v_mad_u64_u32 v[5:6], null, s2, v25, 0
	v_mov_b32_e32 v11, v4
	v_mad_u64_u32 v[59:60], null, s2, v23, 0
	v_mad_u64_u32 v[7:8], null, s3, v44, v[1:2]
	v_add_co_u32 v48, s0, v77, v2
	v_mov_b32_e32 v4, v6
	v_add_co_ci_u32_e64 v49, s0, v78, v3, s0
	v_lshlrev_b64 v[2:3], 2, v[10:11]
	v_mov_b32_e32 v1, v7
	v_mad_u64_u32 v[6:7], null, s3, v25, v[4:5]
	v_mad_u64_u32 v[7:8], null, s2, v36, 0
	;; [unrolled: 1-line block ×3, first 2 shown]
	v_add_co_u32 v52, s0, v77, v2
	v_add_co_ci_u32_e64 v53, s0, v78, v3, s0
	v_mov_b32_e32 v2, v8
	v_lshlrev_b64 v[0:1], 2, v[0:1]
	v_mov_b32_e32 v3, v11
	v_lshlrev_b64 v[5:6], 2, v[5:6]
	v_mad_u64_u32 v[61:62], null, s2, v35, 0
	v_mad_u64_u32 v[63:64], null, s2, v27, 0
	;; [unrolled: 1-line block ×4, first 2 shown]
	v_add_co_u32 v3, s0, v77, v0
	v_mov_b32_e32 v0, v55
	v_add_co_ci_u32_e64 v4, s0, v78, v1, s0
	v_mov_b32_e32 v8, v56
	v_mov_b32_e32 v11, v2
	v_mad_u64_u32 v[0:1], null, s3, v30, v[0:1]
	v_add_co_u32 v1, s0, v77, v5
	v_add_co_ci_u32_e64 v2, s0, v78, v6, s0
	v_lshlrev_b64 v[5:6], 2, v[7:8]
	v_mad_u64_u32 v[7:8], null, s2, v40, 0
	v_mov_b32_e32 v55, v0
	v_lshlrev_b64 v[10:11], 2, v[10:11]
	v_mad_u64_u32 v[74:75], null, s2, v47, 0
	v_add_co_u32 v5, s0, v77, v5
	v_mov_b32_e32 v0, v8
	v_add_co_ci_u32_e64 v6, s0, v78, v6, s0
	v_lshlrev_b64 v[54:55], 2, v[54:55]
	v_add_co_u32 v10, s0, v77, v10
	v_mad_u64_u32 v[56:57], null, s3, v40, v[0:1]
	global_load_dword v0, v[5:6], off
	v_mov_b32_e32 v6, v60
	v_add_co_ci_u32_e64 v11, s0, v78, v11, s0
	v_add_co_u32 v57, s0, v77, v54
	v_mov_b32_e32 v8, v56
	v_add_co_ci_u32_e64 v58, s0, v78, v55, s0
	s_clause 0x3
	global_load_dword v2, v[1:2], off
	global_load_dword v1, v[3:4], off
	;; [unrolled: 1-line block ×4, first 2 shown]
	v_lshlrev_b64 v[7:8], 2, v[7:8]
	s_clause 0x1
	global_load_dword v5, v[14:15], off
	global_load_dword v55, v[12:13], off
	v_mad_u64_u32 v[12:13], null, s3, v23, v[6:7]
	v_mov_b32_e32 v6, v62
	v_mad_u64_u32 v[13:14], null, s2, v45, 0
	v_add_co_u32 v48, s0, v77, v7
	v_mad_u64_u32 v[53:54], null, s3, v35, v[6:7]
	v_mov_b32_e32 v60, v12
	v_add_co_ci_u32_e64 v49, s0, v78, v8, s0
	s_clause 0x2
	global_load_dword v7, v[10:11], off
	global_load_dword v6, v[57:58], off
	;; [unrolled: 1-line block ×3, first 2 shown]
	v_lshlrev_b64 v[10:11], 2, v[59:60]
	v_mov_b32_e32 v8, v14
	v_mov_b32_e32 v62, v53
	v_mad_u64_u32 v[48:49], null, s2, v38, 0
	v_mad_u64_u32 v[14:15], null, s3, v45, v[8:9]
	v_mov_b32_e32 v8, v64
	v_add_co_u32 v53, s0, v77, v10
	v_add_co_ci_u32_e64 v54, s0, v78, v11, s0
	v_lshlrev_b64 v[10:11], 2, v[61:62]
	v_mad_u64_u32 v[56:57], null, s3, v27, v[8:9]
	v_mad_u64_u32 v[57:58], null, s2, v20, 0
	v_mov_b32_e32 v8, v49
	v_add_co_u32 v59, s0, v77, v10
	v_add_co_ci_u32_e64 v60, s0, v78, v11, s0
	v_lshlrev_b64 v[10:11], 2, v[13:14]
	v_mov_b32_e32 v64, v56
	v_mad_u64_u32 v[12:13], null, s3, v38, v[8:9]
	v_mov_b32_e32 v8, v58
	v_mad_u64_u32 v[13:14], null, s2, v31, 0
	v_add_co_u32 v61, s0, v77, v10
	v_add_co_ci_u32_e64 v62, s0, v78, v11, s0
	v_lshlrev_b64 v[10:11], 2, v[63:64]
	v_mad_u64_u32 v[63:64], null, s3, v20, v[8:9]
	v_mov_b32_e32 v49, v12
	v_mad_u64_u32 v[64:65], null, s2, v42, 0
	v_mov_b32_e32 v8, v14
	v_add_co_u32 v66, s0, v77, v10
	v_add_co_ci_u32_e64 v67, s0, v78, v11, s0
	v_lshlrev_b64 v[10:11], 2, v[48:49]
	v_mad_u64_u32 v[48:49], null, s2, v24, 0
	v_mov_b32_e32 v58, v63
	v_mad_u64_u32 v[14:15], null, s3, v31, v[8:9]
	v_mov_b32_e32 v8, v65
	v_add_co_u32 v10, s0, v77, v10
	v_lshlrev_b64 v[56:57], 2, v[57:58]
	v_add_co_ci_u32_e64 v11, s0, v78, v11, s0
	v_mad_u64_u32 v[68:69], null, s3, v42, v[8:9]
	v_mov_b32_e32 v8, v49
	v_lshlrev_b64 v[12:13], 2, v[13:14]
	v_add_co_u32 v49, s0, v77, v56
	v_add_co_ci_u32_e64 v50, s0, v78, v57, s0
	v_mad_u64_u32 v[14:15], null, s3, v24, v[8:9]
	v_mov_b32_e32 v65, v68
	v_mad_u64_u32 v[57:58], null, s2, v34, 0
	global_load_dword v8, v[49:50], off
	v_add_co_u32 v70, s0, v77, v12
	v_mov_b32_e32 v49, v14
	v_lshlrev_b64 v[63:64], 2, v[64:65]
	v_add_co_ci_u32_e64 v71, s0, v78, v13, s0
	v_mov_b32_e32 v12, v58
	v_lshlrev_b64 v[13:14], 2, v[48:49]
	v_add_co_u32 v63, s0, v77, v63
	v_add_co_ci_u32_e64 v64, s0, v78, v64, s0
	v_mad_u64_u32 v[48:49], null, s3, v34, v[12:13]
	v_add_co_u32 v72, s0, v77, v13
	s_clause 0x4
	global_load_dword v10, v[10:11], off
	global_load_dword v13, v[66:67], off
	;; [unrolled: 1-line block ×5, first 2 shown]
	v_mad_u64_u32 v[49:50], null, s2, v29, 0
	v_add_co_ci_u32_e64 v73, s0, v78, v14, s0
	v_mov_b32_e32 v14, v75
	v_mov_b32_e32 v58, v48
	v_mad_u64_u32 v[65:66], null, s2, v22, 0
	v_mov_b32_e32 v12, v50
	v_mad_u64_u32 v[67:68], null, s2, v43, 0
	v_lshlrev_b64 v[57:58], 2, v[57:58]
	s_waitcnt vmcnt(16)
	v_lshrrev_b32_e32 v95, 16, v51
	s_waitcnt vmcnt(14)
	v_lshrrev_b32_e32 v105, 16, v2
	;; [unrolled: 2-line block ×7, first 2 shown]
	s_waitcnt vmcnt(3)
	v_mad_u64_u32 v[53:54], null, s3, v29, v[12:13]
	s_waitcnt vmcnt(1)
	v_mad_u64_u32 v[59:60], null, s3, v47, v[14:15]
	v_mad_u64_u32 v[60:61], null, s2, v41, 0
	v_mov_b32_e32 v14, v66
	v_lshrrev_b32_e32 v84, 16, v15
	v_mov_b32_e32 v50, v53
	v_add_co_u32 v53, s0, v77, v57
	v_add_co_ci_u32_e64 v54, s0, v78, v58, s0
	v_mov_b32_e32 v12, v61
	v_mov_b32_e32 v75, v59
	v_lshlrev_b64 v[48:49], 2, v[49:50]
	v_mov_b32_e32 v50, v68
	v_lshrrev_b32_e32 v85, 16, v13
	v_mad_u64_u32 v[57:58], null, s3, v41, v[12:13]
	v_mad_u64_u32 v[58:59], null, s3, v22, v[14:15]
	v_add_co_u32 v48, s0, v77, v48
	s_clause 0x2
	global_load_dword v69, v[63:64], off
	global_load_dword v14, v[72:73], off
	;; [unrolled: 1-line block ×3, first 2 shown]
	v_lshlrev_b64 v[62:63], 2, v[74:75]
	v_mov_b32_e32 v61, v57
	v_add_co_ci_u32_e64 v49, s0, v78, v49, s0
	v_mov_b32_e32 v66, v58
	v_mad_u64_u32 v[57:58], null, s2, v33, 0
	v_add_co_u32 v72, s0, v77, v62
	global_load_dword v12, v[48:49], off
	v_lshlrev_b64 v[48:49], 2, v[60:61]
	v_mad_u64_u32 v[61:62], null, s2, v37, 0
	v_mov_b32_e32 v54, v58
	v_add_co_ci_u32_e64 v73, s0, v78, v63, s0
	v_mad_u64_u32 v[63:64], null, s3, v43, v[50:51]
	v_lshlrev_b64 v[59:60], 2, v[65:66]
	v_mad_u64_u32 v[64:65], null, s3, v33, v[54:55]
	v_mad_u64_u32 v[65:66], null, s2, v26, 0
	;; [unrolled: 1-line block ×3, first 2 shown]
	v_mov_b32_e32 v50, v62
	v_add_co_u32 v58, s0, v77, v59
	v_add_co_ci_u32_e64 v59, s0, v78, v60, s0
	v_mov_b32_e32 v68, v63
	v_mad_u64_u32 v[62:63], null, s3, v37, v[50:51]
	v_mov_b32_e32 v50, v66
	v_mov_b32_e32 v54, v75
	global_load_dword v63, v[58:59], off
	v_lshlrev_b64 v[59:60], 2, v[67:68]
	v_add_co_u32 v48, s0, v77, v48
	v_mad_u64_u32 v[66:67], null, s3, v26, v[50:51]
	v_mad_u64_u32 v[67:68], null, s3, v19, v[54:55]
	v_lshlrev_b64 v[61:62], 2, v[61:62]
	v_add_co_ci_u32_e64 v49, s0, v78, v49, s0
	v_mov_b32_e32 v58, v64
	v_add_co_u32 v59, s0, v77, v59
	v_add_co_ci_u32_e64 v60, s0, v78, v60, s0
	v_mov_b32_e32 v75, v67
	v_add_co_u32 v61, s0, v77, v61
	v_lshlrev_b64 v[57:58], 2, v[57:58]
	v_add_co_ci_u32_e64 v62, s0, v78, v62, s0
	v_lshlrev_b64 v[75:76], 2, v[74:75]
	global_load_dword v68, v[59:60], off
	v_mov_b32_e32 v50, v28
	global_load_dword v74, v[61:62], off
	v_add_co_u32 v57, s0, v77, v57
	v_lshlrev_b64 v[59:60], 2, v[65:66]
	v_add_co_ci_u32_e64 v58, s0, v78, v58, s0
	v_add_co_u32 v61, s0, v77, v75
	v_add_co_ci_u32_e64 v62, s0, v78, v76, s0
	v_add_co_u32 v59, s0, v77, v59
	v_add_co_ci_u32_e64 v60, s0, v78, v60, s0
	s_clause 0x5
	global_load_dword v66, v[48:49], off
	global_load_dword v54, v[72:73], off
	;; [unrolled: 1-line block ×6, first 2 shown]
	v_mov_b32_e32 v49, v34
	v_mov_b32_e32 v48, v40
	s_waitcnt vmcnt(12)
	v_lshrrev_b32_e32 v87, 16, v69
	s_waitcnt vmcnt(10)
	v_lshrrev_b32_e32 v65, 16, v53
	;; [unrolled: 2-line block ×6, first 2 shown]
.LBB0_13:
	s_or_b32 exec_lo, exec_lo, s1
	v_add_f16_e32 v57, v3, v2
	v_sub_f16_e32 v59, v104, v103
	v_sub_f16_e32 v60, v107, v105
	;; [unrolled: 1-line block ×4, first 2 shown]
	v_fma_f16 v57, -0.5, v57, v51
	v_add_f16_e32 v75, v5, v7
	v_pk_add_f16 v78, v6, v0 neg_lo:[0,1] neg_hi:[0,1]
	v_add_f16_e32 v58, v51, v5
	v_add_f16_e32 v61, v61, v76
	v_fmamk_f16 v77, v59, 0x3b9c, v57
	v_fmac_f16_e32 v57, 0xbb9c, v59
	v_fmac_f16_e32 v51, -0.5, v75
	v_mul_u32_u24_e32 v76, 0x1e0, v9
	v_sub_f16_e32 v9, v3, v5
	v_fmac_f16_e32 v77, 0x38b4, v60
	v_fmac_f16_e32 v57, 0xb8b4, v60
	v_fmamk_f16 v75, v60, 0xbb9c, v51
	v_sub_f16_e32 v80, v2, v7
	v_add_f16_e32 v81, v1, v0
	v_fmac_f16_e32 v77, 0x34f2, v61
	v_fmac_f16_e32 v57, 0x34f2, v61
	v_pk_add_f16 v61, v4, v1 neg_lo:[0,1] neg_hi:[0,1]
	v_pk_add_f16 v82, v4, v6 neg_lo:[0,1] neg_hi:[0,1]
	;; [unrolled: 1-line block ×3, first 2 shown]
	v_fmac_f16_e32 v51, 0x3b9c, v60
	v_fmac_f16_e32 v75, 0x38b4, v59
	v_pk_add_f16 v61, v61, v78
	v_add_f16_e32 v78, v55, v4
	v_add_f16_e32 v9, v9, v80
	v_fma_f16 v80, -0.5, v81, v55
	v_lshrrev_b32_e32 v81, 16, v82
	v_bfi_b32 v61, 0xffff, v61, v88
	v_add_f16_e32 v60, v78, v1
	v_fmac_f16_e32 v51, 0xb8b4, v59
	v_lshrrev_b32_e32 v115, 16, v55
	v_add_f16_sdwa v59, v1, v0 dst_sel:DWORD dst_unused:UNUSED_PAD src0_sel:WORD_1 src1_sel:WORD_1
	v_fmac_f16_e32 v75, 0x34f2, v9
	v_add_f16_e32 v60, v60, v0
	v_fmamk_f16 v78, v81, 0x3b9c, v80
	v_pk_mul_f16 v61, 0x38b434f2, v61
	v_fmac_f16_e32 v51, 0x34f2, v9
	v_fma_f16 v9, -0.5, v59, v115
	v_add_f16_e32 v59, v60, v6
	v_pk_add_f16 v60, v4, v6
	v_add_f16_sdwa v78, v61, v78 dst_sel:DWORD dst_unused:UNUSED_PAD src0_sel:WORD_1 src1_sel:DWORD
	v_fmac_f16_e32 v80, 0xbb9c, v81
	v_fmamk_f16 v113, v82, 0xbb9c, v9
	v_pk_add_f16 v81, v0, v6 neg_lo:[0,1] neg_hi:[0,1]
	v_pk_fma_f16 v55, v60, 0.5, v55 op_sel_hi:[1,0,1] neg_lo:[1,0,0] neg_hi:[1,0,0]
	v_pk_mul_f16 v60, 0x3b9c, v88 op_sel_hi:[0,1]
	v_add_f16_e32 v114, v61, v78
	v_sub_f16_sdwa v78, v80, v61 dst_sel:DWORD dst_unused:UNUSED_PAD src0_sel:DWORD src1_sel:WORD_1
	v_pk_add_f16 v80, v1, v4 neg_lo:[0,1] neg_hi:[0,1]
	v_sub_f16_sdwa v89, v4, v1 dst_sel:DWORD dst_unused:UNUSED_PAD src0_sel:WORD_1 src1_sel:WORD_1
	v_sub_f16_sdwa v90, v6, v0 dst_sel:DWORD dst_unused:UNUSED_PAD src0_sel:WORD_1 src1_sel:WORD_1
	v_pk_mul_f16 v91, 0x38b4, v82 op_sel_hi:[0,1]
	v_pk_add_f16 v92, v55, v60 op_sel:[0,1] op_sel_hi:[1,0] neg_lo:[0,1] neg_hi:[0,1]
	v_pk_add_f16 v55, v60, v55 op_sel:[1,0] op_sel_hi:[0,1]
	v_add_f16_e32 v58, v58, v3
	v_fmac_f16_e32 v113, 0xb8b4, v88
	v_add_f16_e32 v60, v89, v90
	v_pk_add_f16 v80, v80, v81
	v_pk_add_f16 v81, v91, v92 op_sel:[1,0] op_sel_hi:[0,1]
	v_pk_add_f16 v55, v55, v91 op_sel:[0,1] op_sel_hi:[1,0] neg_lo:[0,1] neg_hi:[0,1]
	v_add_f16_e32 v58, v58, v2
	v_fmac_f16_e32 v9, 0x3b9c, v82
	v_fmac_f16_e32 v113, 0x34f2, v60
	v_pk_fma_f16 v118, 0x34f2, v80, v81 op_sel_hi:[0,1,1]
	v_pk_fma_f16 v117, 0x34f2, v80, v55 op_sel_hi:[0,1,1]
	v_add_f16_e32 v58, v58, v7
	v_fmac_f16_e32 v9, 0x38b4, v88
	v_add_f16_e32 v116, v61, v78
	v_mul_f16_e32 v55, 0x38b4, v113
	v_mul_f16_e32 v61, 0x34f2, v118
	v_lshrrev_b32_e32 v78, 16, v117
	v_mul_f16_e32 v80, 0x34f2, v117
	v_lshrrev_b32_e32 v81, 16, v118
	v_add_f16_e32 v88, v13, v8
	v_fmac_f16_e32 v55, 0x3a79, v114
	v_add_f16_e32 v82, v58, v59
	v_fmac_f16_e32 v61, 0x3b9c, v78
	v_fma_f16 v78, v81, 0x3b9c, -v80
	v_sub_f16_e32 v59, v58, v59
	v_add_f16_e32 v58, v52, v15
	v_fma_f16 v88, -0.5, v88, v52
	v_sub_f16_e32 v91, v84, v87
	v_add_f16_e32 v80, v77, v55
	v_add_f16_e32 v89, v75, v61
	;; [unrolled: 1-line block ×3, first 2 shown]
	v_sub_f16_e32 v92, v77, v55
	v_sub_f16_e32 v61, v75, v61
	;; [unrolled: 1-line block ×3, first 2 shown]
	v_add_f16_e32 v55, v58, v13
	v_fmamk_f16 v58, v91, 0x3b9c, v88
	v_add_f16_e32 v75, v15, v69
	v_sub_f16_e32 v77, v85, v86
	v_sub_f16_e32 v78, v15, v13
	;; [unrolled: 1-line block ×3, first 2 shown]
	v_fmac_f16_e32 v88, 0xbb9c, v91
	v_fmac_f16_e32 v9, 0x34f2, v60
	v_mul_f16_e32 v60, 0x3a79, v116
	v_fmac_f16_e32 v52, -0.5, v75
	v_fmac_f16_e32 v58, 0x38b4, v77
	v_add_f16_e32 v75, v78, v93
	v_fmac_f16_e32 v88, 0xb8b4, v77
	v_fma_f16 v60, v9, 0x38b4, -v60
	s_waitcnt vmcnt(3)
	v_pk_add_f16 v93, v14, v83 neg_lo:[0,1] neg_hi:[0,1]
	v_fmamk_f16 v78, v77, 0xbb9c, v52
	v_fmac_f16_e32 v58, 0x34f2, v75
	v_fmac_f16_e32 v88, 0x34f2, v75
	v_pk_add_f16 v75, v11, v10 neg_lo:[0,1] neg_hi:[0,1]
	v_add_f16_e32 v81, v57, v60
	v_sub_f16_e32 v57, v57, v60
	v_sub_f16_e32 v60, v13, v15
	;; [unrolled: 1-line block ×3, first 2 shown]
	v_add_f16_e32 v96, v10, v83
	v_pk_add_f16 v97, v11, v14 neg_lo:[0,1] neg_hi:[0,1]
	v_pk_add_f16 v98, v10, v83 neg_lo:[0,1] neg_hi:[0,1]
	v_pk_add_f16 v75, v75, v93
	v_add_f16_e32 v93, v56, v11
	v_fmac_f16_e32 v52, 0x3b9c, v77
	v_fmac_f16_e32 v78, 0x38b4, v91
	v_add_f16_e32 v60, v60, v94
	v_fma_f16 v94, -0.5, v96, v56
	v_lshrrev_b32_e32 v96, 16, v97
	v_bfi_b32 v75, 0xffff, v75, v98
	v_add_f16_e32 v77, v93, v10
	v_fmac_f16_e32 v52, 0xb8b4, v91
	v_lshrrev_b32_e32 v122, 16, v56
	v_add_f16_sdwa v91, v10, v83 dst_sel:DWORD dst_unused:UNUSED_PAD src0_sel:WORD_1 src1_sel:WORD_1
	v_fmamk_f16 v93, v96, 0x3b9c, v94
	v_pk_mul_f16 v75, 0x38b434f2, v75
	v_add_f16_e32 v77, v77, v83
	v_fmac_f16_e32 v94, 0xbb9c, v96
	v_fma_f16 v119, -0.5, v91, v122
	v_fmac_f16_e32 v78, 0x34f2, v60
	v_fmac_f16_e32 v52, 0x34f2, v60
	v_add_f16_e32 v60, v77, v14
	v_sub_f16_sdwa v77, v94, v75 dst_sel:DWORD dst_unused:UNUSED_PAD src0_sel:DWORD src1_sel:WORD_1
	v_pk_add_f16 v91, v11, v14
	v_fmamk_f16 v120, v97, 0xbb9c, v119
	v_sub_f16_sdwa v94, v11, v10 dst_sel:DWORD dst_unused:UNUSED_PAD src0_sel:WORD_1 src1_sel:WORD_1
	v_sub_f16_sdwa v96, v14, v83 dst_sel:DWORD dst_unused:UNUSED_PAD src0_sel:WORD_1 src1_sel:WORD_1
	v_add_f16_sdwa v93, v75, v93 dst_sel:DWORD dst_unused:UNUSED_PAD src0_sel:WORD_1 src1_sel:DWORD
	v_pk_fma_f16 v56, v91, 0.5, v56 op_sel_hi:[1,0,1] neg_lo:[1,0,0] neg_hi:[1,0,0]
	v_pk_mul_f16 v91, 0x3b9c, v98 op_sel_hi:[0,1]
	v_fmac_f16_e32 v120, 0xb8b4, v98
	v_add_f16_e32 v94, v94, v96
	v_add_f16_e32 v121, v75, v93
	v_pk_add_f16 v93, v10, v11 neg_lo:[0,1] neg_hi:[0,1]
	v_pk_add_f16 v99, v83, v14 neg_lo:[0,1] neg_hi:[0,1]
	v_fmac_f16_e32 v119, 0x3b9c, v97
	v_pk_mul_f16 v96, 0x38b4, v97 op_sel_hi:[0,1]
	v_pk_add_f16 v97, v56, v91 op_sel:[0,1] op_sel_hi:[1,0] neg_lo:[0,1] neg_hi:[0,1]
	v_pk_add_f16 v56, v91, v56 op_sel:[1,0] op_sel_hi:[0,1]
	v_fmac_f16_e32 v120, 0x34f2, v94
	v_fmac_f16_e32 v119, 0x38b4, v98
	v_pk_add_f16 v91, v93, v99
	v_pk_add_f16 v93, v96, v97 op_sel:[1,0] op_sel_hi:[0,1]
	v_pk_add_f16 v56, v56, v96 op_sel:[0,1] op_sel_hi:[1,0] neg_lo:[0,1] neg_hi:[0,1]
	v_add_f16_e32 v123, v75, v77
	v_mul_f16_e32 v75, 0x38b4, v120
	v_fmac_f16_e32 v119, 0x34f2, v94
	v_pk_fma_f16 v125, 0x34f2, v91, v93 op_sel_hi:[0,1,1]
	v_pk_fma_f16 v124, 0x34f2, v91, v56 op_sel_hi:[0,1,1]
	v_mul_f16_e32 v56, 0x3a79, v123
	v_fmac_f16_e32 v75, 0x3a79, v121
	v_add_f16_e32 v55, v55, v8
	v_mul_f16_e32 v77, 0x34f2, v125
	v_lshrrev_b32_e32 v93, 16, v124
	v_mul_f16_e32 v94, 0x34f2, v124
	v_lshrrev_b32_e32 v96, 16, v125
	v_add_f16_e32 v97, v63, v68
	v_add_f16_e32 v98, v58, v75
	v_fma_f16 v56, v119, 0x38b4, -v56
	v_sub_f16_e32 v108, v58, v75
	v_add_f16_e32 v58, v12, v74
	v_add_f16_e32 v55, v55, v69
	v_fmac_f16_e32 v77, 0x3b9c, v93
	v_fma_f16 v93, v96, 0x3b9c, -v94
	v_fma_f16 v94, -0.5, v97, v53
	v_sub_f16_e32 v96, v70, v73
	v_add_f16_e32 v97, v88, v56
	v_sub_f16_e32 v88, v88, v56
	v_fma_f16 v56, -0.5, v58, v53
	v_perm_b32 v53, v54, v53, 0x5040100
	v_perm_b32 v58, v66, v12, 0x5040100
	v_add_f16_e32 v91, v55, v60
	v_sub_f16_e32 v60, v55, v60
	v_fmamk_f16 v101, v96, 0x3b9c, v94
	v_sub_f16_e32 v55, v71, v72
	v_sub_f16_e32 v102, v12, v63
	;; [unrolled: 1-line block ×3, first 2 shown]
	v_fmac_f16_e32 v94, 0xbb9c, v96
	v_pk_add_f16 v53, v53, v58
	s_waitcnt vmcnt(0)
	v_perm_b32 v58, v67, v63, 0x5040100
	v_add_f16_e32 v99, v78, v77
	v_add_f16_e32 v100, v52, v93
	v_sub_f16_e32 v109, v78, v77
	v_fmac_f16_e32 v101, 0x38b4, v55
	v_add_f16_e32 v75, v102, v106
	v_sub_f16_e32 v52, v52, v93
	v_fmac_f16_e32 v94, 0xb8b4, v55
	v_fmamk_f16 v77, v55, 0xbb9c, v56
	v_sub_f16_e32 v78, v63, v12
	v_sub_f16_e32 v93, v68, v74
	v_fmac_f16_e32 v56, 0x3b9c, v55
	v_pk_add_f16 v53, v53, v58
	v_pk_add_f16 v55, v66, v67 neg_lo:[0,1] neg_hi:[0,1]
	v_pk_add_f16 v58, v62, v64 neg_lo:[0,1] neg_hi:[0,1]
	v_fmac_f16_e32 v101, 0x34f2, v75
	v_fmac_f16_e32 v94, 0x34f2, v75
	v_add_f16_e32 v75, v78, v93
	v_perm_b32 v78, v64, v68, 0x5040100
	v_add_f16_e32 v93, v67, v64
	v_pk_add_f16 v102, v66, v62 neg_lo:[0,1] neg_hi:[0,1]
	v_pk_add_f16 v106, v67, v64 neg_lo:[0,1] neg_hi:[0,1]
	v_pk_add_f16 v55, v55, v58
	v_pk_add_f16 v53, v53, v78
	v_fma_f16 v58, -0.5, v93, v54
	v_lshrrev_b32_e32 v78, 16, v102
	v_fmac_f16_e32 v77, 0x38b4, v96
	v_bfi_b32 v55, 0xffff, v55, v106
	v_fmac_f16_e32 v56, 0xb8b4, v96
	v_lshrrev_b32_e32 v128, 16, v54
	v_fmamk_f16 v110, v78, 0x3b9c, v58
	v_fmac_f16_e32 v77, 0x34f2, v75
	v_pk_mul_f16 v55, 0x38b434f2, v55
	v_fmac_f16_e32 v56, 0x34f2, v75
	v_add_f16_sdwa v93, v67, v64 dst_sel:DWORD dst_unused:UNUSED_PAD src0_sel:WORD_1 src1_sel:WORD_1
	v_fmac_f16_e32 v58, 0xbb9c, v78
	v_perm_b32 v96, v62, v74, 0x5040100
	v_add_f16_sdwa v75, v55, v110 dst_sel:DWORD dst_unused:UNUSED_PAD src0_sel:WORD_1 src1_sel:DWORD
	v_sub_f16_sdwa v78, v66, v67 dst_sel:DWORD dst_unused:UNUSED_PAD src0_sel:WORD_1 src1_sel:WORD_1
	v_fma_f16 v126, -0.5, v93, v128
	v_sub_f16_sdwa v93, v62, v64 dst_sel:DWORD dst_unused:UNUSED_PAD src0_sel:WORD_1 src1_sel:WORD_1
	v_sub_f16_sdwa v58, v58, v55 dst_sel:DWORD dst_unused:UNUSED_PAD src0_sel:DWORD src1_sel:WORD_1
	v_add_f16_e32 v129, v55, v75
	v_pk_add_f16 v75, v66, v62
	v_pk_add_f16 v53, v53, v96
	v_fmamk_f16 v127, v102, 0xbb9c, v126
	v_add_f16_e32 v78, v78, v93
	v_fmac_f16_e32 v126, 0x3b9c, v102
	v_pk_fma_f16 v54, v75, 0.5, v54 op_sel_hi:[1,0,1] neg_lo:[1,0,0] neg_hi:[1,0,0]
	v_pk_mul_f16 v75, 0x3b9c, v106 op_sel_hi:[0,1]
	v_add_f16_e32 v130, v55, v58
	v_pk_add_f16 v58, v67, v66 neg_lo:[0,1] neg_hi:[0,1]
	v_pk_mul_f16 v96, 0x38b4, v102 op_sel_hi:[0,1]
	v_pk_add_f16 v102, v64, v62 neg_lo:[0,1] neg_hi:[0,1]
	v_pk_add_f16 v93, v75, v54 op_sel:[1,0] op_sel_hi:[0,1]
	v_pk_add_f16 v54, v54, v75 op_sel:[0,1] op_sel_hi:[1,0] neg_lo:[0,1] neg_hi:[0,1]
	v_lshlrev_b32_e32 v55, 1, v76
	v_fmac_f16_e32 v127, 0xb8b4, v106
	v_pk_add_f16 v58, v58, v102
	v_pk_add_f16 v76, v93, v96 op_sel:[0,1] op_sel_hi:[1,0] neg_lo:[0,1] neg_hi:[0,1]
	v_pk_add_f16 v54, v96, v54 op_sel:[1,0] op_sel_hi:[0,1]
	v_mul_u32_u24_e32 v93, 10, v46
	v_add_nc_u32_e32 v96, 0, v55
	v_fmac_f16_e32 v126, 0x38b4, v106
	v_pk_fma_f16 v134, 0x34f2, v58, v76 op_sel_hi:[0,1,1]
	v_pk_fma_f16 v135, 0x34f2, v58, v54 op_sel_hi:[0,1,1]
	v_pack_b32_f16 v54, v89, v90
	v_lshl_add_u32 v131, v93, 1, v96
	v_pack_b32_f16 v58, v82, v80
	v_fmac_f16_e32 v127, 0x34f2, v78
	v_fmac_f16_e32 v126, 0x34f2, v78
	v_mul_f16_e32 v78, 0x34f2, v135
	v_lshrrev_b32_e32 v80, 16, v134
	v_mul_f16_e32 v82, 0x34f2, v134
	ds_write2_b32 v131, v58, v54 offset1:1
	v_lshrrev_b32_e32 v54, 16, v135
	v_mul_f16_e32 v75, 0x38b4, v127
	v_mul_f16_e32 v76, 0x3a79, v130
	v_fmac_f16_e32 v78, 0x3b9c, v80
	v_add_f16_sdwa v90, v53, v53 dst_sel:DWORD dst_unused:UNUSED_PAD src0_sel:DWORD src1_sel:WORD_1
	v_fma_f16 v54, v54, 0x3b9c, -v82
	v_fmac_f16_e32 v75, 0x3a79, v129
	v_fma_f16 v89, v126, 0x38b4, -v76
	v_add_f16_e32 v82, v77, v78
	v_sub_f16_e32 v76, v77, v78
	v_add_f16_e32 v93, v56, v54
	v_sub_f16_sdwa v77, v53, v53 dst_sel:DWORD dst_unused:UNUSED_PAD src0_sel:DWORD src1_sel:WORD_1
	v_sub_f16_e32 v56, v56, v54
	v_mul_i32_i24_e32 v53, 10, v48
	v_pack_b32_f16 v54, v92, v61
	v_pack_b32_f16 v59, v81, v59
	;; [unrolled: 1-line block ×3, first 2 shown]
	v_add_f16_e32 v80, v101, v75
	v_lshl_add_u32 v132, v53, 1, v96
	v_pack_b32_f16 v53, v99, v100
	v_pack_b32_f16 v57, v91, v98
	ds_write2_b32 v131, v59, v54 offset0:2 offset1:3
	v_mul_i32_i24_e32 v54, 10, v49
	v_add_f16_e32 v58, v94, v89
	v_sub_f16_e32 v75, v101, v75
	v_pack_b32_f16 v61, v108, v109
	v_pack_b32_f16 v60, v97, v60
	v_sub_f16_e32 v78, v94, v89
	ds_write_b32 v131, v51 offset:16
	ds_write2_b32 v132, v57, v53 offset1:1
	ds_write2_b32 v132, v60, v61 offset0:2 offset1:3
	v_pack_b32_f16 v51, v52, v88
	v_lshlrev_b32_e32 v60, 1, v46
	v_lshl_add_u32 v133, v54, 1, v96
	v_pack_b32_f16 v52, v82, v93
	v_pack_b32_f16 v53, v90, v80
	;; [unrolled: 1-line block ×5, first 2 shown]
	ds_write_b32 v132, v51 offset:16
	ds_write2_b32 v133, v53, v52 offset1:1
	ds_write2_b32 v133, v57, v54 offset0:2 offset1:3
	ds_write_b32 v133, v59 offset:16
	v_add_nc_u32_e32 v51, v96, v60
	v_add3_u32 v52, 0, v60, v55
	s_waitcnt lgkmcnt(0)
	s_barrier
	buffer_gl0_inv
	ds_read_u16 v81, v51
	ds_read_u16 v106, v52 offset:120
	ds_read_u16 v88, v52 offset:152
	v_lshl_add_u32 v53, v48, 1, v96
	ds_read_u16 v89, v52 offset:392
	v_lshl_add_u32 v54, v49, 1, v96
	ds_read_u16 v108, v52 offset:720
	ds_read_u16 v91, v52 offset:752
	;; [unrolled: 1-line block ×14, first 2 shown]
	ds_read_u16 v80, v54
	ds_read_u16 v82, v53
	ds_read_u16 v94, v52 offset:904
	ds_read_u16 v102, v52 offset:872
	;; [unrolled: 1-line block ×4, first 2 shown]
	v_cmp_gt_u32_e64 s0, 12, v46
	v_lshlrev_b32_e32 v57, 1, v50
                                        ; implicit-def: $vgpr100
                                        ; implicit-def: $vgpr101
	s_and_saveexec_b32 s1, s0
	s_cbranch_execz .LBB0_15
; %bb.14:
	v_add3_u32 v58, 0, v57, v55
	ds_read_u16 v77, v52 offset:216
	ds_read_u16 v75, v52 offset:336
	;; [unrolled: 1-line block ×6, first 2 shown]
	ds_read_u16 v58, v58
	ds_read_u16 v101, v52 offset:936
.LBB0_15:
	s_or_b32 exec_lo, exec_lo, s1
	v_add_f16_e32 v136, v107, v105
	v_add_f16_e32 v137, v95, v104
	;; [unrolled: 1-line block ×3, first 2 shown]
	v_sub_f16_e32 v5, v5, v7
	v_sub_f16_e32 v2, v3, v2
	;; [unrolled: 1-line block ×3, first 2 shown]
	v_fma_f16 v7, -0.5, v136, v95
	v_sub_f16_e32 v104, v107, v104
	v_add_f16_e32 v107, v137, v107
	v_sub_f16_e32 v139, v105, v103
	v_fmac_f16_e32 v95, -0.5, v138
	v_add_f16_sdwa v4, v115, v4 dst_sel:DWORD dst_unused:UNUSED_PAD src0_sel:DWORD src1_sel:WORD_1
	v_sub_f16_e32 v136, v103, v105
	v_fmamk_f16 v137, v5, 0xbb9c, v7
	v_add_f16_e32 v105, v107, v105
	v_fmamk_f16 v107, v2, 0x3b9c, v95
	v_fmac_f16_e32 v95, 0xbb9c, v2
	v_fmac_f16_e32 v7, 0x3b9c, v5
	v_add_f16_e32 v104, v104, v139
	v_add_f16_sdwa v1, v4, v1 dst_sel:DWORD dst_unused:UNUSED_PAD src0_sel:DWORD src1_sel:WORD_1
	v_fmac_f16_e32 v137, 0xb8b4, v2
	v_fmac_f16_e32 v107, 0xb8b4, v5
	;; [unrolled: 1-line block ×4, first 2 shown]
	v_mul_f16_e32 v2, 0x34f2, v104
	v_add_f16_sdwa v0, v1, v0 dst_sel:DWORD dst_unused:UNUSED_PAD src0_sel:DWORD src1_sel:WORD_1
	v_add_f16_e32 v104, v79, v84
	v_add_f16_e32 v3, v3, v136
	v_add_f16_e32 v103, v105, v103
	v_pack_b32_f16 v4, v95, v107
	v_add_f16_sdwa v0, v0, v6 dst_sel:DWORD dst_unused:UNUSED_PAD src0_sel:DWORD src1_sel:WORD_1
	v_add_f16_e32 v104, v104, v85
	v_fmac_f16_e32 v137, 0x34f2, v3
	v_mul_f16_e32 v1, 0xb8b4, v114
	v_fmac_f16_e32 v7, 0x34f2, v3
	v_pk_mul_f16 v3, 0x34f23b9c, v118
	v_pk_add_f16 v2, v2, v4 op_sel_hi:[0,1]
	v_mul_f16_e32 v4, 0x3a79, v9
	v_add_f16_e32 v5, v103, v0
	v_add_f16_e32 v6, v85, v86
	v_sub_f16_e32 v0, v103, v0
	v_add_f16_e32 v103, v104, v86
	v_add_f16_e32 v104, v84, v87
	v_fmac_f16_e32 v1, 0x3a79, v113
	v_pk_fma_f16 v3, 0x34f2bb9c, v117, v3 op_sel:[0,0,1] op_sel_hi:[1,1,0] neg_lo:[0,0,1] neg_hi:[0,0,1]
	v_fma_f16 v4, v116, 0xb8b4, -v4
	v_fma_f16 v6, -0.5, v6, v79
	v_sub_f16_e32 v15, v15, v69
	v_sub_f16_e32 v8, v13, v8
	v_fmac_f16_e32 v79, -0.5, v104
	v_add_f16_e32 v9, v137, v1
	v_pk_add_f16 v95, v2, v3
	v_add_f16_e32 v69, v7, v4
	v_bfi_b32 v105, 0xffff, v137, v2
	v_bfi_b32 v1, 0xffff, v1, v3
	v_fmamk_f16 v107, v15, 0xbb9c, v6
	v_sub_f16_e32 v13, v84, v85
	v_sub_f16_e32 v113, v87, v86
	;; [unrolled: 1-line block ×4, first 2 shown]
	v_fmac_f16_e32 v6, 0x3b9c, v15
	v_sub_f16_e32 v7, v85, v84
	v_sub_f16_e32 v84, v86, v87
	v_add_f16_sdwa v11, v122, v11 dst_sel:DWORD dst_unused:UNUSED_PAD src0_sel:DWORD src1_sel:WORD_1
	v_fmamk_f16 v85, v8, 0x3b9c, v79
	v_fmac_f16_e32 v79, 0xbb9c, v8
	v_fmac_f16_e32 v107, 0xb8b4, v8
	v_add_f16_e32 v13, v13, v113
	v_fmac_f16_e32 v6, 0x38b4, v8
	v_add_f16_e32 v7, v7, v84
	v_add_f16_sdwa v8, v11, v10 dst_sel:DWORD dst_unused:UNUSED_PAD src0_sel:DWORD src1_sel:WORD_1
	v_fmac_f16_e32 v85, 0xb8b4, v15
	v_fmac_f16_e32 v79, 0x38b4, v15
	;; [unrolled: 1-line block ×4, first 2 shown]
	v_mul_f16_e32 v7, 0x34f2, v7
	v_add_f16_sdwa v8, v8, v83 dst_sel:DWORD dst_unused:UNUSED_PAD src0_sel:DWORD src1_sel:WORD_1
	v_mul_f16_e32 v10, 0xb8b4, v121
	v_pack_b32_f16 v11, v79, v85
	v_pk_mul_f16 v13, 0x34f23b9c, v125
	v_add_f16_e32 v4, v103, v87
	v_add_f16_sdwa v8, v8, v14 dst_sel:DWORD dst_unused:UNUSED_PAD src0_sel:DWORD src1_sel:WORD_1
	v_fmac_f16_e32 v10, 0x3a79, v120
	v_pk_add_f16 v7, v7, v11 op_sel_hi:[0,1]
	v_pk_fma_f16 v11, 0x34f2bb9c, v124, v13 op_sel:[0,0,1] op_sel_hi:[1,1,0] neg_lo:[0,0,1] neg_hi:[0,0,1]
	v_add_f16_e32 v14, v65, v70
	v_mul_f16_e32 v15, 0x3a79, v119
	v_add_f16_e32 v79, v107, v10
	v_add_f16_e32 v85, v71, v72
	v_pk_add_f16 v83, v7, v11
	v_add_f16_e32 v14, v14, v71
	v_bfi_b32 v86, 0xffff, v107, v7
	v_bfi_b32 v10, 0xffff, v10, v11
	v_sub_f16_e32 v7, v7, v11
	v_add_f16_e32 v11, v70, v73
	v_fma_f16 v13, v123, 0xb8b4, -v15
	v_add_f16_e32 v15, v4, v8
	v_sub_f16_e32 v4, v4, v8
	v_add_f16_e32 v8, v14, v72
	v_fma_f16 v14, -0.5, v85, v65
	v_sub_f16_e32 v63, v63, v68
	v_fmac_f16_e32 v65, -0.5, v11
	v_sub_f16_e32 v12, v12, v74
	v_sub_f16_e32 v68, v70, v71
	;; [unrolled: 1-line block ×5, first 2 shown]
	v_fmamk_f16 v72, v63, 0x3b9c, v65
	v_fmac_f16_e32 v65, 0xbb9c, v63
	v_add_f16_sdwa v66, v128, v66 dst_sel:DWORD dst_unused:UNUSED_PAD src0_sel:DWORD src1_sel:WORD_1
	v_fmamk_f16 v74, v12, 0xbb9c, v14
	v_add_f16_e32 v11, v68, v11
	v_add_f16_e32 v68, v70, v71
	v_fmac_f16_e32 v72, 0xb8b4, v12
	v_fmac_f16_e32 v65, 0x38b4, v12
	v_add_f16_sdwa v66, v66, v67 dst_sel:DWORD dst_unused:UNUSED_PAD src0_sel:DWORD src1_sel:WORD_1
	v_fmac_f16_e32 v74, 0xb8b4, v63
	v_mul_f16_e32 v68, 0x34f2, v68
	v_mul_f16_e32 v67, 0xb8b4, v129
	v_pack_b32_f16 v65, v65, v72
	v_pk_mul_f16 v70, 0x34f23b9c, v135
	v_fmac_f16_e32 v14, 0x3b9c, v12
	v_add_f16_sdwa v12, v66, v64 dst_sel:DWORD dst_unused:UNUSED_PAD src0_sel:DWORD src1_sel:WORD_1
	v_fmac_f16_e32 v74, 0x34f2, v11
	v_fmac_f16_e32 v67, 0x3a79, v127
	v_pk_add_f16 v64, v68, v65 op_sel_hi:[0,1]
	v_pk_fma_f16 v65, 0x34f2bb9c, v134, v70 op_sel:[0,0,1] op_sel_hi:[1,1,0] neg_lo:[0,0,1] neg_hi:[0,0,1]
	v_fmac_f16_e32 v14, 0x38b4, v63
	v_mul_f16_e32 v63, 0x3a79, v126
	v_add_f16_e32 v8, v8, v73
	v_add_f16_sdwa v12, v12, v62 dst_sel:DWORD dst_unused:UNUSED_PAD src0_sel:DWORD src1_sel:WORD_1
	v_bfi_b32 v62, 0xffff, v74, v64
	v_bfi_b32 v66, 0xffff, v67, v65
	v_fmac_f16_e32 v14, 0x34f2, v11
	v_fma_f16 v11, v130, 0xb8b4, -v63
	v_add_f16_e32 v84, v6, v13
	v_sub_f16_e32 v6, v6, v13
	v_add_f16_e32 v13, v8, v12
	v_sub_f16_e32 v72, v8, v12
	v_alignbit_b32 v8, v95, v95, 16
	v_pack_b32_f16 v5, v5, v9
	v_pk_add_f16 v1, v105, v1 neg_lo:[0,1] neg_hi:[0,1]
	v_pack_b32_f16 v0, v69, v0
	v_pk_add_f16 v66, v62, v66
	v_add_f16_e32 v68, v64, v65
	v_pack_b32_f16 v2, v2, v3
	v_add_f16_e32 v62, v14, v11
	v_alignbit_b32 v3, v83, v83, 16
	v_pack_b32_f16 v9, v15, v79
	v_sub_f16_e32 v73, v74, v67
	v_pk_add_f16 v63, v64, v65 neg_lo:[0,1] neg_hi:[0,1]
	v_sub_f16_e32 v74, v14, v11
	v_pk_add_f16 v10, v86, v10 neg_lo:[0,1] neg_hi:[0,1]
	s_waitcnt lgkmcnt(0)
	s_barrier
	buffer_gl0_inv
	ds_write2_b32 v131, v5, v8 offset1:1
	ds_write2_b32 v131, v0, v1 offset0:2 offset1:3
	ds_write_b32 v131, v2 offset:16
	ds_write2_b32 v132, v9, v3 offset1:1
	v_pack_b32_f16 v0, v84, v4
	v_pack_b32_f16 v1, v7, v6
	v_alignbit_b32 v2, v68, v66, 16
	v_pack_b32_f16 v3, v13, v66
	v_pack_b32_f16 v4, v62, v72
	v_bfi_b32 v5, 0xffff, v73, v63
	v_pack_b32_f16 v6, v63, v74
	ds_write2_b32 v132, v0, v10 offset0:2 offset1:3
	ds_write_b32 v132, v1 offset:16
	ds_write2_b32 v133, v3, v2 offset1:1
	ds_write_b32 v133, v4 offset:8
	ds_write2_b32 v133, v5, v6 offset0:3 offset1:4
	s_waitcnt lgkmcnt(0)
	s_barrier
	buffer_gl0_inv
	ds_read_u16 v64, v51
	ds_read_u16 v119, v52 offset:120
	ds_read_u16 v79, v52 offset:152
	;; [unrolled: 1-line block ×8, first 2 shown]
	ds_read_u16 v65, v54
	ds_read_u16 v121, v52 offset:360
	ds_read_u16 v84, v52 offset:304
	;; [unrolled: 1-line block ×10, first 2 shown]
	ds_read_u16 v66, v53
	ds_read_u16 v104, v52 offset:904
	ds_read_u16 v124, v52 offset:840
	ds_read_u16 v107, v52 offset:784
                                        ; implicit-def: $vgpr115
                                        ; implicit-def: $vgpr116
	s_and_saveexec_b32 s1, s0
	s_cbranch_execz .LBB0_17
; %bb.16:
	ds_read_u16 v63, v52 offset:576
	v_add3_u32 v0, 0, v57, v55
	ds_read_u16 v62, v0
	ds_read_u16 v115, v52 offset:816
	ds_read_u16 v72, v52 offset:216
	;; [unrolled: 1-line block ×3, first 2 shown]
	s_waitcnt lgkmcnt(4)
	ds_read_u16_d16_hi v63, v52 offset:456
	ds_read_u16 v74, v52 offset:696
	ds_read_u16 v116, v52 offset:936
.LBB0_17:
	s_or_b32 exec_lo, exec_lo, s1
	v_add_nc_u32_e32 v0, -10, v46
	v_cmp_gt_u32_e64 s1, 10, v46
	v_and_b32_e32 v2, 0xff, v48
	v_mov_b32_e32 v1, 0
	v_cndmask_b32_e64 v113, v0, v46, s1
	v_mul_lo_u16 v2, 0xcd, v2
	v_mul_i32_i24_e32 v0, 7, v113
	v_lshrrev_b16 v117, 11, v2
	v_and_b32_e32 v2, 0xff, v49
	v_lshlrev_b64 v[0:1], 2, v[0:1]
	v_mul_lo_u16 v3, v117, 10
	v_mul_lo_u16 v117, 0x50, v117
	v_sub_nc_u16 v118, v48, v3
	v_add_co_u32 v0, s1, s8, v0
	v_add_co_ci_u32_e64 v1, s1, s9, v1, s1
	v_cmp_lt_u32_e64 s1, 9, v46
	v_or_b32_e32 v117, v117, v118
	s_clause 0x1
	global_load_dwordx4 v[4:7], v[0:1], off
	global_load_dwordx3 v[127:129], v[0:1], off offset:16
	v_mul_lo_u16 v0, 0xcd, v2
	v_mul_lo_u16 v1, v118, 7
	v_and_b32_e32 v2, 0xff, v50
	v_cndmask_b32_e64 v140, 0, 0x50, s1
	v_lshrrev_b16 v125, 11, v0
	v_mov_b32_e32 v0, 2
	v_or_b32_e32 v113, v140, v113
	v_mov_b32_e32 v140, 1
	v_mul_lo_u16 v3, v125, 10
	v_lshlrev_b32_sdwa v0, v0, v1 dst_sel:DWORD dst_unused:UNUSED_PAD src0_sel:DWORD src1_sel:BYTE_0
	v_mul_lo_u16 v1, 0xcd, v2
	v_mov_b32_e32 v2, 7
	v_lshlrev_b32_e32 v113, 1, v113
	v_sub_nc_u16 v139, v49, v3
	s_clause 0x1
	global_load_dwordx4 v[12:15], v0, s[8:9]
	global_load_dwordx3 v[130:132], v0, s[8:9] offset:16
	v_lshrrev_b16 v69, 11, v1
	v_add3_u32 v118, 0, v113, v55
	v_mul_u32_u24_sdwa v1, v139, v2 dst_sel:DWORD dst_unused:UNUSED_PAD src0_sel:BYTE_0 src1_sel:DWORD
	v_lshlrev_b32_sdwa v113, v140, v117 dst_sel:DWORD dst_unused:UNUSED_PAD src0_sel:DWORD src1_sel:BYTE_0
	v_mul_lo_u16 v3, v69, 10
	v_lshlrev_b32_e32 v0, 2, v1
	v_add3_u32 v117, 0, v113, v55
	v_sub_nc_u16 v70, v50, v3
	s_clause 0x1
	global_load_dwordx4 v[8:11], v0, s[8:9]
	global_load_dwordx3 v[133:135], v0, s[8:9] offset:16
	v_mul_u32_u24_sdwa v1, v70, v2 dst_sel:DWORD dst_unused:UNUSED_PAD src0_sel:BYTE_0 src1_sel:DWORD
	v_lshlrev_b32_e32 v126, 2, v1
	s_clause 0x1
	global_load_dwordx4 v[0:3], v126, s[8:9]
	global_load_dwordx3 v[136:138], v126, s[8:9] offset:16
	v_mov_b32_e32 v126, 0x50
	s_waitcnt vmcnt(0) lgkmcnt(0)
	s_barrier
	buffer_gl0_inv
	v_mul_u32_u24_sdwa v125, v125, v126 dst_sel:DWORD dst_unused:UNUSED_PAD src0_sel:WORD_0 src1_sel:DWORD
	v_or_b32_sdwa v125, v125, v139 dst_sel:DWORD dst_unused:UNUSED_PAD src0_sel:DWORD src1_sel:BYTE_0
	v_lshrrev_b32_e32 v139, 16, v63
	v_lshlrev_b32_e32 v125, 1, v125
	v_add3_u32 v113, 0, v125, v55
	v_mul_f16_sdwa v140, v119, v4 dst_sel:DWORD dst_unused:UNUSED_PAD src0_sel:DWORD src1_sel:WORD_1
	v_mul_f16_sdwa v141, v106, v4 dst_sel:DWORD dst_unused:UNUSED_PAD src0_sel:DWORD src1_sel:WORD_1
	v_mul_f16_sdwa v142, v122, v5 dst_sel:DWORD dst_unused:UNUSED_PAD src0_sel:DWORD src1_sel:WORD_1
	v_mul_f16_sdwa v125, v110, v5 dst_sel:DWORD dst_unused:UNUSED_PAD src0_sel:DWORD src1_sel:WORD_1
	v_mul_f16_sdwa v143, v121, v6 dst_sel:DWORD dst_unused:UNUSED_PAD src0_sel:DWORD src1_sel:WORD_1
	v_mul_f16_sdwa v144, v109, v6 dst_sel:DWORD dst_unused:UNUSED_PAD src0_sel:DWORD src1_sel:WORD_1
	v_mul_f16_sdwa v145, v71, v7 dst_sel:DWORD dst_unused:UNUSED_PAD src0_sel:DWORD src1_sel:WORD_1
	v_mul_f16_sdwa v146, v123, v127 dst_sel:DWORD dst_unused:UNUSED_PAD src0_sel:DWORD src1_sel:WORD_1
	v_mul_f16_sdwa v147, v111, v127 dst_sel:DWORD dst_unused:UNUSED_PAD src0_sel:DWORD src1_sel:WORD_1
	v_mul_f16_sdwa v148, v120, v128 dst_sel:DWORD dst_unused:UNUSED_PAD src0_sel:DWORD src1_sel:WORD_1
	v_mul_f16_sdwa v149, v108, v128 dst_sel:DWORD dst_unused:UNUSED_PAD src0_sel:DWORD src1_sel:WORD_1
	v_mul_f16_sdwa v150, v124, v129 dst_sel:DWORD dst_unused:UNUSED_PAD src0_sel:DWORD src1_sel:WORD_1
	v_mul_f16_sdwa v151, v112, v129 dst_sel:DWORD dst_unused:UNUSED_PAD src0_sel:DWORD src1_sel:WORD_1
	v_fma_f16 v140, v106, v4, -v140
	v_fmac_f16_e32 v141, v119, v4
	v_fma_f16 v110, v110, v5, -v142
	v_fmac_f16_e32 v125, v122, v5
	;; [unrolled: 2-line block ×3, first 2 shown]
	v_fma_f16 v6, v61, v7, -v145
	v_fma_f16 v111, v111, v127, -v146
	v_fmac_f16_e32 v147, v123, v127
	v_fma_f16 v108, v108, v128, -v148
	v_fmac_f16_e32 v149, v120, v128
	;; [unrolled: 2-line block ×3, first 2 shown]
	v_mul_f16_sdwa v119, v79, v12 dst_sel:DWORD dst_unused:UNUSED_PAD src0_sel:DWORD src1_sel:WORD_1
	v_mul_f16_sdwa v120, v88, v12 dst_sel:DWORD dst_unused:UNUSED_PAD src0_sel:DWORD src1_sel:WORD_1
	;; [unrolled: 1-line block ×37, first 2 shown]
	v_sub_f16_e32 v172, v81, v6
	v_sub_f16_e32 v6, v110, v108
	;; [unrolled: 1-line block ×7, first 2 shown]
	v_fma_f16 v88, v88, v12, -v119
	v_fmac_f16_e32 v120, v79, v12
	v_fma_f16 v79, v96, v13, -v121
	v_fmac_f16_e32 v5, v95, v13
	;; [unrolled: 2-line block ×3, first 2 shown]
	v_fma_f16 v12, v60, v15, -v124
	v_fma_f16 v14, v99, v130, -v127
	;; [unrolled: 1-line block ×3, first 2 shown]
	v_fmac_f16_e32 v142, v85, v131
	v_fma_f16 v85, v102, v132, -v143
	v_fmac_f16_e32 v128, v114, v130
	v_fmac_f16_e32 v145, v83, v132
	v_fma_f16 v83, v93, v8, -v146
	v_fmac_f16_e32 v148, v103, v8
	v_fma_f16 v89, v90, v9, -v150
	;; [unrolled: 2-line block ×4, first 2 shown]
	v_fma_f16 v10, v92, v133, -v155
	v_fmac_f16_e32 v156, v86, v133
	v_fma_f16 v9, v98, v134, -v157
	v_fmac_f16_e32 v158, v107, v134
	;; [unrolled: 2-line block ×3, first 2 shown]
	v_mul_f16_sdwa v169, v100, v137 dst_sel:DWORD dst_unused:UNUSED_PAD src0_sel:DWORD src1_sel:WORD_1
	v_fma_f16 v91, v77, v0, -v161
	v_fmac_f16_e32 v162, v72, v0
	v_fma_f16 v97, v75, v1, -v163
	v_fmac_f16_e32 v106, v73, v1
	;; [unrolled: 2-line block ×4, first 2 shown]
	v_fma_f16 v75, v100, v137, -v168
	v_fma_f16 v76, v101, v138, -v170
	v_fmac_f16_e32 v171, v116, v138
	v_fma_f16 v81, v81, 2.0, -v172
	v_fma_f16 v90, v110, 2.0, -v6
	;; [unrolled: 1-line block ×6, first 2 shown]
	v_sub_f16_e32 v95, v172, v108
	v_sub_f16_e32 v96, v111, v149
	;; [unrolled: 1-line block ×16, first 2 shown]
	v_fmac_f16_e32 v169, v115, v137
	v_add_f16_e32 v99, v147, v112
	v_sub_f16_e32 v77, v97, v75
	v_sub_f16_e32 v105, v91, v2
	;; [unrolled: 1-line block ×6, first 2 shown]
	v_fma_f16 v110, v172, 2.0, -v95
	v_sub_f16_e32 v8, v93, v92
	v_sub_f16_e32 v92, v74, v94
	v_fma_f16 v94, v111, 2.0, -v96
	v_fmamk_f16 v112, v96, 0x39a8, v95
	v_fma_f16 v114, v82, 2.0, -v100
	v_fma_f16 v82, v79, 2.0, -v1
	;; [unrolled: 1-line block ×4, first 2 shown]
	v_mul_f16_e32 v10, 0x39a8, v96
	v_fma_f16 v90, v120, 2.0, -v87
	v_fma_f16 v96, v123, 2.0, -v98
	v_sub_f16_e32 v116, v100, v72
	v_sub_f16_e32 v119, v14, v98
	v_add_f16_e32 v85, v87, v85
	v_fma_f16 v120, v80, 2.0, -v101
	v_fma_f16 v80, v89, 2.0, -v0
	;; [unrolled: 1-line block ×6, first 2 shown]
	v_sub_f16_e32 v122, v101, v9
	v_sub_f16_e32 v104, v102, v104
	v_fma_f16 v111, v147, 2.0, -v99
	v_mul_f16_e32 v12, 0x39a8, v99
	v_add_f16_e32 v123, v103, v86
	v_fma_f16 v98, v91, 2.0, -v105
	v_fma_f16 v91, v73, 2.0, -v75
	v_sub_f16_e32 v127, v105, v76
	v_add_f16_e32 v128, v107, v75
	v_fma_f16 v129, v81, 2.0, -v109
	v_fma_f16 v93, v93, 2.0, -v8
	v_mul_f16_e32 v88, 0x39a8, v94
	v_fmamk_f16 v130, v94, 0xb9a8, v110
	v_sub_f16_e32 v94, v109, v92
	v_fmac_f16_e32 v112, 0xb9a8, v99
	v_sub_f16_e32 v99, v114, v82
	v_sub_f16_e32 v75, v115, v13
	v_fma_f16 v79, v162, 2.0, -v107
	v_fma_f16 v124, v165, 2.0, -v76
	;; [unrolled: 1-line block ×3, first 2 shown]
	v_sub_f16_e32 v96, v90, v96
	v_fma_f16 v131, v14, 2.0, -v119
	v_fma_f16 v132, v87, 2.0, -v85
	v_sub_f16_e32 v133, v120, v80
	v_fma_f16 v101, v101, 2.0, -v122
	v_sub_f16_e32 v14, v121, v83
	v_sub_f16_e32 v87, v2, v84
	v_fma_f16 v84, v102, 2.0, -v104
	v_mul_f16_e32 v13, 0x39a8, v119
	v_fmamk_f16 v119, v119, 0x39a8, v116
	v_mul_f16_e32 v89, 0x39a8, v111
	v_fma_f16 v102, v103, 2.0, -v123
	v_mul_f16_e32 v73, 0x39a8, v104
	v_fmamk_f16 v103, v104, 0x39a8, v122
	v_fma_f16 v104, v105, 2.0, -v127
	v_fma_f16 v105, v107, 2.0, -v128
	v_sub_f16_e32 v107, v129, v93
	v_fmac_f16_e32 v130, 0xb9a8, v111
	v_fma_f16 v109, v109, 2.0, -v94
	v_fma_f16 v111, v95, 2.0, -v112
	ds_write_b16 v118, v94 offset:120
	ds_write_b16 v118, v112 offset:140
	v_fma_f16 v112, v114, 2.0, -v99
	v_fma_f16 v114, v115, 2.0, -v75
	v_sub_f16_e32 v82, v79, v124
	v_mul_f16_e32 v81, 0x39a8, v127
	v_fmamk_f16 v115, v131, 0xb9a8, v100
	v_sub_f16_e32 v124, v99, v96
	v_fma_f16 v120, v120, 2.0, -v133
	v_fma_f16 v121, v121, 2.0, -v14
	v_fmamk_f16 v127, v84, 0xb9a8, v101
	v_fmac_f16_e32 v119, 0xb9a8, v85
	v_sub_f16_e32 v80, v98, v91
	v_mul_f16_e32 v91, 0x39a8, v84
	v_mul_f16_e32 v84, 0x39a8, v104
	v_fma_f16 v104, v129, 2.0, -v107
	ds_write_b16 v118, v109 offset:40
	ds_write_b16 v118, v111 offset:60
	;; [unrolled: 1-line block ×4, first 2 shown]
	v_sub_f16_e32 v107, v112, v114
	v_sub_f16_e32 v78, v106, v169
	v_mul_f16_e32 v86, 0x39a8, v85
	v_mul_f16_e32 v76, 0x39a8, v123
	;; [unrolled: 1-line block ×6, first 2 shown]
	v_sub_f16_e32 v128, v133, v87
	v_fmac_f16_e32 v103, 0xb9a8, v123
	v_mul_f16_e32 v85, 0x39a8, v105
	v_fma_f16 v105, v110, 2.0, -v130
	v_fmac_f16_e32 v115, 0xb9a8, v132
	v_fma_f16 v99, v99, 2.0, -v124
	v_sub_f16_e32 v110, v120, v121
	v_fmac_f16_e32 v127, 0xb9a8, v102
	v_fma_f16 v109, v116, 2.0, -v119
	ds_write_b16 v118, v104
	ds_write_b16 v118, v105 offset:20
	ds_write_b16 v117, v124 offset:120
	;; [unrolled: 1-line block ×3, first 2 shown]
	v_fma_f16 v104, v112, 2.0, -v107
	v_fma_f16 v102, v133, 2.0, -v128
	;; [unrolled: 1-line block ×6, first 2 shown]
	ds_write_b16 v117, v99 offset:40
	ds_write_b16 v117, v109 offset:60
	;; [unrolled: 1-line block ×4, first 2 shown]
	ds_write_b16 v117, v104
	ds_write_b16 v117, v100 offset:20
	ds_write_b16 v113, v105
	ds_write_b16 v113, v101 offset:20
	ds_write_b16 v113, v102 offset:40
	;; [unrolled: 1-line block ×7, first 2 shown]
	s_and_saveexec_b32 s1, s0
	s_cbranch_execz .LBB0_19
; %bb.18:
	v_mul_f16_sdwa v99, v63, v3 dst_sel:DWORD dst_unused:UNUSED_PAD src0_sel:DWORD src1_sel:WORD_1
	v_fma_f16 v97, v97, 2.0, -v77
	v_mul_u32_u24_sdwa v100, v69, v126 dst_sel:DWORD dst_unused:UNUSED_PAD src0_sel:WORD_0 src1_sel:DWORD
	v_fma_f16 v98, v98, 2.0, -v80
	v_fma_f16 v99, v56, v3, -v99
	v_or_b32_sdwa v100, v100, v70 dst_sel:DWORD dst_unused:UNUSED_PAD src0_sel:DWORD src1_sel:BYTE_0
	v_sub_f16_e32 v99, v58, v99
	v_lshlrev_b32_e32 v100, 1, v100
	v_fma_f16 v58, v58, 2.0, -v99
	v_sub_f16_e32 v101, v99, v78
	v_add3_u32 v100, 0, v100, v55
	v_sub_f16_e32 v97, v58, v97
	v_fma_f16 v99, v99, 2.0, -v101
	v_add_f16_e32 v102, v101, v81
	v_fma_f16 v58, v58, 2.0, -v97
	v_sub_f16_e32 v103, v99, v84
	v_sub_f16_e32 v104, v97, v82
	;; [unrolled: 1-line block ×5, first 2 shown]
	v_fma_f16 v97, v97, 2.0, -v104
	v_fma_f16 v101, v101, 2.0, -v102
	ds_write_b16 v100, v104 offset:120
	v_fma_f16 v58, v58, 2.0, -v98
	v_fma_f16 v99, v99, 2.0, -v103
	ds_write_b16 v100, v97 offset:40
	ds_write_b16 v100, v101 offset:60
	;; [unrolled: 1-line block ×4, first 2 shown]
	ds_write_b16 v100, v58
	ds_write_b16 v100, v99 offset:20
	ds_write_b16 v100, v102 offset:140
.LBB0_19:
	s_or_b32 exec_lo, exec_lo, s1
	v_mul_f16_sdwa v58, v61, v7 dst_sel:DWORD dst_unused:UNUSED_PAD src0_sel:DWORD src1_sel:WORD_1
	v_mul_f16_sdwa v60, v60, v15 dst_sel:DWORD dst_unused:UNUSED_PAD src0_sel:DWORD src1_sel:WORD_1
	;; [unrolled: 1-line block ×3, first 2 shown]
	v_fma_f16 v61, v125, 2.0, -v108
	v_fma_f16 v5, v5, 2.0, -v72
	v_fmac_f16_e32 v58, v71, v7
	v_fmac_f16_e32 v60, v67, v15
	;; [unrolled: 1-line block ×3, first 2 shown]
	v_fma_f16 v4, v4, 2.0, -v9
	v_fma_f16 v7, v74, 2.0, -v92
	v_sub_f16_e32 v11, v64, v58
	v_sub_f16_e32 v58, v66, v60
	v_sub_f16_e32 v9, v65, v59
	v_fma_f16 v15, v90, 2.0, -v96
	v_fma_f16 v2, v2, 2.0, -v87
	;; [unrolled: 1-line block ×3, first 2 shown]
	v_add_f16_e32 v6, v11, v6
	v_fma_f16 v60, v66, 2.0, -v58
	v_add_f16_e32 v1, v58, v1
	v_fma_f16 v64, v65, 2.0, -v9
	v_sub_f16_e32 v61, v59, v61
	v_fma_f16 v11, v11, 2.0, -v6
	v_add_f16_e32 v12, v6, v12
	v_sub_f16_e32 v5, v60, v5
	v_fma_f16 v58, v58, 2.0, -v1
	v_fma_f16 v59, v59, 2.0, -v61
	v_sub_f16_e32 v65, v11, v89
	v_add_f16_e32 v89, v61, v8
	v_add_f16_e32 v90, v10, v12
	v_fma_f16 v8, v60, 2.0, -v5
	v_add_f16_e32 v0, v9, v0
	v_sub_f16_e32 v92, v59, v7
	v_sub_f16_e32 v7, v58, v95
	v_fma_f16 v99, v6, 2.0, -v90
	v_sub_f16_e32 v96, v8, v15
	v_sub_f16_e32 v4, v64, v4
	v_fma_f16 v6, v9, 2.0, -v0
	v_add_f16_e32 v102, v5, v75
	v_add_f16_e32 v94, v94, v7
	v_fma_f16 v100, v8, 2.0, -v96
	v_add_f16_e32 v7, v1, v86
	v_fma_f16 v8, v64, 2.0, -v4
	v_sub_f16_e32 v9, v6, v93
	v_fma_f16 v86, v5, 2.0, -v102
	v_add_f16_e32 v5, v0, v76
	v_add_f16_e32 v88, v88, v65
	;; [unrolled: 1-line block ×3, first 2 shown]
	v_sub_f16_e32 v93, v8, v2
	v_add_f16_e32 v91, v91, v9
	v_add_f16_e32 v103, v4, v14
	;; [unrolled: 1-line block ×3, first 2 shown]
	v_add3_u32 v76, 0, v57, v55
	v_fma_f16 v95, v61, 2.0, -v89
	v_fma_f16 v97, v59, 2.0, -v92
	;; [unrolled: 1-line block ×9, first 2 shown]
	s_waitcnt lgkmcnt(0)
	s_barrier
	buffer_gl0_inv
	ds_read_u16 v5, v52 offset:832
	ds_read_u16 v2, v54
	ds_read_u16 v4, v76
	;; [unrolled: 1-line block ×3, first 2 shown]
	ds_read_u16 v10, v52 offset:128
	ds_read_u16 v65, v52 offset:160
	;; [unrolled: 1-line block ×24, first 2 shown]
	ds_read_u16 v1, v53
	ds_read_u16 v71, v52 offset:928
	s_waitcnt lgkmcnt(0)
	s_barrier
	buffer_gl0_inv
	ds_write_b16 v118, v97
	ds_write_b16 v118, v98 offset:20
	ds_write_b16 v118, v95 offset:40
	ds_write_b16 v118, v99 offset:60
	ds_write_b16 v118, v92 offset:80
	ds_write_b16 v118, v88 offset:100
	ds_write_b16 v118, v89 offset:120
	ds_write_b16 v118, v90 offset:140
	ds_write_b16 v117, v100
	ds_write_b16 v117, v101 offset:20
	ds_write_b16 v117, v86 offset:40
	ds_write_b16 v117, v105 offset:60
	ds_write_b16 v117, v96 offset:80
	ds_write_b16 v117, v94 offset:100
	ds_write_b16 v117, v102 offset:120
	ds_write_b16 v117, v87 offset:140
	;; [unrolled: 8-line block ×3, first 2 shown]
	s_and_saveexec_b32 s1, s0
	s_cbranch_execz .LBB0_21
; %bb.20:
	v_mul_f16_sdwa v56, v56, v3 dst_sel:DWORD dst_unused:UNUSED_PAD src0_sel:DWORD src1_sel:WORD_1
	v_fmac_f16_e32 v56, v63, v3
	v_mov_b32_e32 v3, 0x50
	v_fma_f16 v63, v106, 2.0, -v78
	v_sub_f16_e32 v56, v62, v56
	v_mul_u32_u24_sdwa v3, v69, v3 dst_sel:DWORD dst_unused:UNUSED_PAD src0_sel:WORD_0 src1_sel:DWORD
	v_fma_f16 v62, v62, 2.0, -v56
	v_add_f16_e32 v69, v56, v77
	v_or_b32_sdwa v3, v3, v70 dst_sel:DWORD dst_unused:UNUSED_PAD src0_sel:DWORD src1_sel:BYTE_0
	v_fma_f16 v70, v79, 2.0, -v82
	v_sub_f16_e32 v63, v62, v63
	v_fma_f16 v56, v56, 2.0, -v69
	v_add_f16_e32 v77, v69, v83
	v_lshlrev_b32_e32 v3, 1, v3
	v_fma_f16 v62, v62, 2.0, -v63
	v_sub_f16_e32 v78, v56, v85
	v_add_f16_e32 v79, v63, v80
	v_add_f16_e32 v77, v81, v77
	v_add3_u32 v3, 0, v3, v55
	v_sub_f16_e32 v55, v62, v70
	v_add_f16_e32 v70, v84, v78
	v_fma_f16 v63, v63, 2.0, -v79
	v_fma_f16 v69, v69, 2.0, -v77
	ds_write_b16 v3, v79 offset:120
	v_fma_f16 v62, v62, 2.0, -v55
	v_fma_f16 v56, v56, 2.0, -v70
	ds_write_b16 v3, v63 offset:40
	ds_write_b16 v3, v69 offset:60
	;; [unrolled: 1-line block ×4, first 2 shown]
	ds_write_b16 v3, v62
	ds_write_b16 v3, v56 offset:20
	ds_write_b16 v3, v77 offset:140
.LBB0_21:
	s_or_b32 exec_lo, exec_lo, s1
	s_waitcnt lgkmcnt(0)
	s_barrier
	buffer_gl0_inv
	s_and_saveexec_b32 s0, vcc_lo
	s_cbranch_execz .LBB0_23
; %bb.22:
	v_mul_u32_u24_e32 v3, 5, v23
	v_mul_u32_u24_e32 v55, 5, v46
	v_mov_b32_e32 v56, 0
	v_lshlrev_b32_e32 v3, 2, v3
	v_lshlrev_b32_e32 v55, 2, v55
	s_clause 0x3
	global_load_dwordx4 v[77:80], v3, s[8:9] offset:280
	global_load_dword v3, v3, s[8:9] offset:296
	global_load_dwordx4 v[81:84], v55, s[8:9] offset:280
	global_load_dword v69, v55, s[8:9] offset:296
	v_mul_i32_i24_e32 v55, 5, v50
	v_lshlrev_b64 v[62:63], 2, v[55:56]
	v_mul_i32_i24_e32 v55, 5, v49
	v_lshlrev_b64 v[49:50], 2, v[55:56]
	v_add_co_u32 v62, vcc_lo, s8, v62
	v_add_co_ci_u32_e32 v63, vcc_lo, s9, v63, vcc_lo
	v_mul_i32_i24_e32 v55, 5, v48
	v_add_co_u32 v49, vcc_lo, s8, v49
	v_add_co_ci_u32_e32 v50, vcc_lo, s9, v50, vcc_lo
	s_clause 0x3
	global_load_dwordx4 v[85:88], v[62:63], off offset:280
	global_load_dword v62, v[62:63], off offset:296
	global_load_dwordx4 v[89:92], v[49:50], off offset:280
	global_load_dword v50, v[49:50], off offset:296
	v_lshlrev_b64 v[48:49], 2, v[55:56]
	v_add_co_u32 v48, vcc_lo, s8, v48
	v_add_co_ci_u32_e32 v49, vcc_lo, s9, v49, vcc_lo
	s_clause 0x1
	global_load_dwordx4 v[93:96], v[48:49], off offset:280
	global_load_dword v48, v[48:49], off offset:296
	ds_read_u16 v49, v52 offset:448
	ds_read_u16 v55, v52 offset:160
	;; [unrolled: 1-line block ×3, first 2 shown]
	ds_read_u16 v63, v76
	ds_read_u16 v54, v54
	;; [unrolled: 1-line block ×3, first 2 shown]
	ds_read_u16 v70, v52 offset:928
	ds_read_u16 v76, v52 offset:896
	;; [unrolled: 1-line block ×23, first 2 shown]
	ds_read_u16 v117, v51
	s_waitcnt vmcnt(8)
	v_lshrrev_b32_e32 v123, 16, v3
	v_lshrrev_b32_e32 v51, 16, v77
	;; [unrolled: 1-line block ×5, first 2 shown]
	s_waitcnt lgkmcnt(29)
	v_mul_f16_e32 v121, v78, v49
	s_waitcnt lgkmcnt(16)
	v_mul_f16_e32 v122, v80, v102
	v_mul_f16_e32 v124, v79, v56
	;; [unrolled: 1-line block ×4, first 2 shown]
	s_waitcnt vmcnt(7)
	v_mul_f16_sdwa v127, v99, v82 dst_sel:DWORD dst_unused:UNUSED_PAD src0_sel:DWORD src1_sel:WORD_1
	s_waitcnt lgkmcnt(12)
	v_mul_f16_sdwa v128, v106, v84 dst_sel:DWORD dst_unused:UNUSED_PAD src0_sel:DWORD src1_sel:WORD_1
	v_mul_f16_sdwa v129, v74, v82 dst_sel:DWORD dst_unused:UNUSED_PAD src0_sel:DWORD src1_sel:WORD_1
	;; [unrolled: 1-line block ×4, first 2 shown]
	s_waitcnt lgkmcnt(8)
	v_mul_f16_sdwa v132, v110, v83 dst_sel:DWORD dst_unused:UNUSED_PAD src0_sel:DWORD src1_sel:WORD_1
	s_waitcnt vmcnt(6)
	v_mul_f16_sdwa v133, v101, v69 dst_sel:DWORD dst_unused:UNUSED_PAD src0_sel:DWORD src1_sel:WORD_1
	v_mul_f16_sdwa v134, v72, v83 dst_sel:DWORD dst_unused:UNUSED_PAD src0_sel:DWORD src1_sel:WORD_1
	;; [unrolled: 1-line block ×4, first 2 shown]
	v_mul_f16_e32 v49, v118, v49
	v_mul_f16_e32 v102, v120, v102
	v_fmac_f16_e32 v121, v66, v118
	v_fmac_f16_e32 v122, v68, v120
	v_mul_f16_e32 v98, v51, v98
	v_mul_f16_e32 v56, v119, v56
	;; [unrolled: 1-line block ×3, first 2 shown]
	v_fmac_f16_e32 v124, v67, v119
	v_fmac_f16_e32 v125, v71, v123
	;; [unrolled: 1-line block ×3, first 2 shown]
	v_fma_f16 v74, v74, v82, -v127
	v_fma_f16 v75, v75, v84, -v128
	v_fmac_f16_e32 v129, v82, v99
	v_fmac_f16_e32 v130, v84, v106
	v_fma_f16 v65, v65, v81, -v131
	v_fma_f16 v72, v72, v83, -v132
	;; [unrolled: 1-line block ×3, first 2 shown]
	v_fmac_f16_e32 v134, v83, v110
	v_fmac_f16_e32 v135, v69, v101
	;; [unrolled: 1-line block ×3, first 2 shown]
	s_waitcnt vmcnt(5)
	v_lshrrev_b32_e32 v51, 16, v88
	s_waitcnt lgkmcnt(7)
	v_mul_f16_sdwa v55, v111, v86 dst_sel:DWORD dst_unused:UNUSED_PAD src0_sel:DWORD src1_sel:WORD_1
	v_mul_f16_sdwa v69, v61, v86 dst_sel:DWORD dst_unused:UNUSED_PAD src0_sel:DWORD src1_sel:WORD_1
	v_mul_f16_e32 v81, v88, v103
	s_waitcnt lgkmcnt(4)
	v_mul_f16_sdwa v82, v114, v85 dst_sel:DWORD dst_unused:UNUSED_PAD src0_sel:DWORD src1_sel:WORD_1
	v_mul_f16_sdwa v83, v107, v87 dst_sel:DWORD dst_unused:UNUSED_PAD src0_sel:DWORD src1_sel:WORD_1
	s_waitcnt vmcnt(4)
	v_lshrrev_b32_e32 v84, 16, v62
	v_mul_f16_sdwa v99, v60, v87 dst_sel:DWORD dst_unused:UNUSED_PAD src0_sel:DWORD src1_sel:WORD_1
	v_mul_f16_e32 v101, v62, v76
	v_mul_f16_sdwa v106, v59, v85 dst_sel:DWORD dst_unused:UNUSED_PAD src0_sel:DWORD src1_sel:WORD_1
	v_fma_f16 v49, v66, v78, -v49
	v_fma_f16 v66, v68, v80, -v102
	v_add_f16_e32 v68, v121, v122
	v_fma_f16 v64, v64, v77, -v98
	v_fma_f16 v56, v67, v79, -v56
	v_fma_f16 v67, v71, v3, -v70
	v_add_f16_e32 v3, v124, v125
	s_waitcnt lgkmcnt(1)
	v_add_f16_e32 v71, v121, v52
	v_add_f16_e32 v77, v126, v124
	;; [unrolled: 1-line block ×3, first 2 shown]
	v_fma_f16 v55, v61, v86, -v55
	v_mul_f16_e32 v61, v51, v103
	v_fmac_f16_e32 v69, v86, v111
	v_fmac_f16_e32 v81, v57, v51
	v_fma_f16 v51, v59, v85, -v82
	v_fma_f16 v59, v60, v87, -v83
	v_mul_f16_e32 v60, v84, v76
	v_fmac_f16_e32 v99, v87, v107
	v_fmac_f16_e32 v101, v58, v84
	;; [unrolled: 1-line block ×3, first 2 shown]
	s_waitcnt vmcnt(3)
	v_mul_f16_sdwa v76, v112, v90 dst_sel:DWORD dst_unused:UNUSED_PAD src0_sel:DWORD src1_sel:WORD_1
	v_mul_f16_sdwa v82, v104, v92 dst_sel:DWORD dst_unused:UNUSED_PAD src0_sel:DWORD src1_sel:WORD_1
	;; [unrolled: 1-line block ×4, first 2 shown]
	s_waitcnt vmcnt(2)
	v_mul_f16_sdwa v87, v97, v50 dst_sel:DWORD dst_unused:UNUSED_PAD src0_sel:DWORD src1_sel:WORD_1
	v_mul_f16_sdwa v111, v11, v89 dst_sel:DWORD dst_unused:UNUSED_PAD src0_sel:DWORD src1_sel:WORD_1
	v_sub_f16_e32 v78, v121, v122
	v_sub_f16_e32 v79, v74, v75
	v_add_f16_e32 v118, v134, v135
	v_mul_f16_sdwa v83, v13, v90 dst_sel:DWORD dst_unused:UNUSED_PAD src0_sel:DWORD src1_sel:WORD_1
	v_mul_f16_sdwa v84, v15, v92 dst_sel:DWORD dst_unused:UNUSED_PAD src0_sel:DWORD src1_sel:WORD_1
	v_mul_f16_sdwa v103, v12, v91 dst_sel:DWORD dst_unused:UNUSED_PAD src0_sel:DWORD src1_sel:WORD_1
	v_mul_f16_sdwa v107, v14, v50 dst_sel:DWORD dst_unused:UNUSED_PAD src0_sel:DWORD src1_sel:WORD_1
	v_sub_f16_e32 v114, v49, v66
	v_fma_f16 v52, -0.5, v68, v52
	v_add_f16_e32 v68, v56, v67
	v_sub_f16_e32 v120, v56, v67
	v_fma_f16 v121, -0.5, v3, v126
	v_add_f16_e32 v71, v122, v71
	v_add_f16_e32 v77, v77, v125
	;; [unrolled: 1-line block ×5, first 2 shown]
	s_waitcnt lgkmcnt(0)
	v_fma_f16 v80, -0.5, v80, v117
	v_fma_f16 v57, v57, v88, -v61
	v_add_f16_e32 v61, v69, v81
	v_fma_f16 v58, v58, v62, -v60
	v_sub_f16_e32 v60, v99, v101
	v_add_f16_e32 v62, v99, v101
	v_add_f16_e32 v88, v69, v63
	;; [unrolled: 1-line block ×3, first 2 shown]
	v_fma_f16 v13, v13, v90, -v76
	v_fma_f16 v15, v15, v92, -v82
	;; [unrolled: 1-line block ×5, first 2 shown]
	v_fmac_f16_e32 v111, v89, v115
	s_waitcnt vmcnt(1)
	v_mul_f16_sdwa v82, v8, v94 dst_sel:DWORD dst_unused:UNUSED_PAD src0_sel:DWORD src1_sel:WORD_1
	v_mul_f16_sdwa v85, v9, v96 dst_sel:DWORD dst_unused:UNUSED_PAD src0_sel:DWORD src1_sel:WORD_1
	v_mul_f16_sdwa v87, v109, v95 dst_sel:DWORD dst_unused:UNUSED_PAD src0_sel:DWORD src1_sel:WORD_1
	s_waitcnt vmcnt(0)
	v_mul_f16_sdwa v89, v100, v48 dst_sel:DWORD dst_unused:UNUSED_PAD src0_sel:DWORD src1_sel:WORD_1
	v_sub_f16_e32 v70, v124, v125
	v_add_f16_e32 v98, v72, v73
	v_sub_f16_e32 v110, v72, v73
	v_fma_f16 v118, -0.5, v118, v136
	v_sub_f16_e32 v69, v69, v81
	v_add_f16_e32 v123, v4, v55
	v_add_f16_e32 v124, v51, v59
	v_fmac_f16_e32 v83, v90, v112
	v_fmac_f16_e32 v84, v92, v104
	;; [unrolled: 1-line block ×4, first 2 shown]
	v_mul_f16_sdwa v86, v116, v93 dst_sel:DWORD dst_unused:UNUSED_PAD src0_sel:DWORD src1_sel:WORD_1
	v_mul_f16_sdwa v90, v7, v95 dst_sel:DWORD dst_unused:UNUSED_PAD src0_sel:DWORD src1_sel:WORD_1
	;; [unrolled: 1-line block ×4, first 2 shown]
	v_fma_f16 v64, -0.5, v68, v64
	v_fmamk_f16 v68, v120, 0x3aee, v121
	v_fmac_f16_e32 v121, 0xbaee, v120
	v_sub_f16_e32 v3, v71, v77
	v_fma_f16 v104, -0.5, v122, v10
	v_add_f16_e32 v49, v49, v66
	v_add_f16_e32 v56, v56, v67
	;; [unrolled: 1-line block ×3, first 2 shown]
	v_fmamk_f16 v66, v79, 0x3aee, v80
	v_fmac_f16_e32 v80, 0xbaee, v79
	v_sub_f16_e32 v77, v55, v57
	v_fma_f16 v61, -0.5, v61, v63
	v_add_f16_e32 v63, v59, v58
	v_sub_f16_e32 v59, v59, v58
	v_fma_f16 v62, -0.5, v62, v106
	v_add_f16_e32 v79, v81, v88
	v_add_f16_e32 v81, v99, v101
	;; [unrolled: 1-line block ×3, first 2 shown]
	v_sub_f16_e32 v106, v12, v76
	v_add_f16_e32 v12, v11, v12
	v_fmac_f16_e32 v82, v94, v113
	v_fmac_f16_e32 v85, v96, v105
	v_fma_f16 v7, v7, v95, -v87
	v_fma_f16 v87, v5, v48, -v89
	v_sub_f16_e32 v102, v134, v135
	v_fma_f16 v98, -0.5, v98, v65
	v_mul_f16_sdwa v14, v113, v94 dst_sel:DWORD dst_unused:UNUSED_PAD src0_sel:DWORD src1_sel:WORD_1
	v_mul_f16_sdwa v50, v105, v96 dst_sel:DWORD dst_unused:UNUSED_PAD src0_sel:DWORD src1_sel:WORD_1
	v_fmamk_f16 v97, v114, 0x3aee, v52
	v_fmac_f16_e32 v52, 0xbaee, v114
	v_fmamk_f16 v71, v110, 0x3aee, v118
	v_fmac_f16_e32 v118, 0xbaee, v110
	v_add_f16_e32 v55, v55, v57
	v_add_f16_e32 v57, v123, v57
	;; [unrolled: 1-line block ×8, first 2 shown]
	v_fma_f16 v86, v6, v93, -v86
	v_fmac_f16_e32 v90, v95, v109
	v_fmac_f16_e32 v91, v48, v100
	;; [unrolled: 1-line block ×3, first 2 shown]
	v_fmamk_f16 v48, v70, 0xbaee, v64
	v_fmac_f16_e32 v64, 0x3aee, v70
	v_fmamk_f16 v70, v78, 0xbaee, v104
	v_fmac_f16_e32 v104, 0x3aee, v78
	v_mul_f16_e32 v78, 0x3aee, v121
	v_sub_f16_e32 v5, v49, v56
	v_add_f16_e32 v6, v49, v56
	v_fmamk_f16 v56, v77, 0x3aee, v61
	v_fma_f16 v51, -0.5, v63, v51
	v_fmamk_f16 v63, v59, 0x3aee, v62
	v_fmac_f16_e32 v61, 0xbaee, v77
	v_add_f16_e32 v12, v12, v76
	v_add_f16_e32 v76, v82, v85
	;; [unrolled: 1-line block ×3, first 2 shown]
	v_fmamk_f16 v67, v102, 0xbaee, v98
	v_fmac_f16_e32 v98, 0x3aee, v102
	v_sub_f16_e32 v88, v13, v15
	v_sub_f16_e32 v102, v103, v107
	v_add_f16_e32 v103, v111, v103
	v_sub_f16_e32 v83, v83, v84
	v_fma_f16 v8, v8, v94, -v14
	v_fma_f16 v9, v9, v96, -v50
	v_mul_f16_e32 v89, -0.5, v68
	v_fmac_f16_e32 v62, 0xbaee, v59
	v_sub_f16_e32 v13, v79, v81
	v_fma_f16 v55, -0.5, v55, v4
	v_sub_f16_e32 v14, v57, v58
	v_add_f16_e32 v49, v79, v81
	v_add_f16_e32 v50, v57, v58
	v_fma_f16 v54, -0.5, v99, v54
	v_fma_f16 v57, -0.5, v101, v11
	v_fma_f16 v58, -0.5, v108, v111
	v_add_f16_e32 v4, v84, v110
	v_fma_f16 v59, -0.5, v112, v2
	v_add_f16_e32 v2, v114, v15
	v_sub_f16_e32 v79, v90, v91
	v_add_f16_e32 v84, v90, v91
	v_add_f16_e32 v95, v82, v53
	;; [unrolled: 1-line block ×3, first 2 shown]
	v_mul_f16_e32 v99, 0xbaee, v64
	v_fmac_f16_e32 v78, 0.5, v64
	v_fmamk_f16 v64, v60, 0xbaee, v51
	v_mul_f16_e32 v100, -0.5, v63
	v_fma_f16 v53, -0.5, v76, v53
	v_fma_f16 v76, -0.5, v77, v86
	v_add_f16_e32 v11, v103, v107
	v_sub_f16_e32 v15, v8, v9
	v_sub_f16_e32 v81, v7, v87
	v_add_f16_e32 v96, v8, v9
	v_add_f16_e32 v8, v1, v8
	;; [unrolled: 1-line block ×3, first 2 shown]
	v_fmac_f16_e32 v89, 0xbaee, v48
	v_fmac_f16_e32 v51, 0x3aee, v60
	v_fmamk_f16 v103, v102, 0xbaee, v57
	v_fmamk_f16 v105, v106, 0x3aee, v58
	v_fmac_f16_e32 v58, 0xbaee, v106
	v_fmac_f16_e32 v57, 0x3aee, v102
	v_fmamk_f16 v102, v83, 0xbaee, v59
	v_fmac_f16_e32 v59, 0x3aee, v83
	v_sub_f16_e32 v83, v2, v12
	v_add_f16_e32 v107, v2, v12
	v_fma_f16 v77, -0.5, v84, v92
	v_add_f16_e32 v12, v90, v91
	v_fmac_f16_e32 v100, 0xbaee, v64
	v_mul_f16_e32 v64, -0.5, v64
	v_fmamk_f16 v91, v79, 0xbaee, v76
	v_fmac_f16_e32 v76, 0x3aee, v79
	v_sub_f16_e32 v82, v82, v85
	v_mul_f16_e32 v48, -0.5, v48
	v_fmamk_f16 v60, v69, 0xbaee, v55
	v_fmac_f16_e32 v55, 0x3aee, v69
	v_mul_f16_e32 v69, 0x3aee, v62
	v_fmamk_f16 v101, v88, 0x3aee, v54
	v_fmac_f16_e32 v54, 0xbaee, v88
	v_sub_f16_e32 v88, v4, v11
	v_add_f16_e32 v106, v4, v11
	v_add_f16_e32 v11, v85, v95
	v_fma_f16 v84, -0.5, v96, v1
	v_add_f16_e32 v8, v8, v9
	v_add_f16_e32 v9, v7, v87
	v_sub_f16_e32 v1, v97, v89
	v_sub_f16_e32 v2, v104, v78
	v_add_f16_e32 v4, v97, v89
	v_add_f16_e32 v7, v104, v78
	v_mul_f16_e32 v78, 0xbaee, v51
	v_mul_f16_e32 v85, -0.5, v105
	v_mul_f16_e32 v86, 0xbaee, v57
	v_mul_f16_e32 v89, 0x3aee, v58
	v_fmamk_f16 v90, v15, 0x3aee, v53
	v_fmamk_f16 v92, v81, 0x3aee, v77
	v_fmac_f16_e32 v53, 0xbaee, v15
	v_fmac_f16_e32 v77, 0xbaee, v81
	v_sub_f16_e32 v15, v56, v100
	v_fmac_f16_e32 v64, 0x3aee, v63
	v_add_f16_e32 v63, v56, v100
	v_mul_f16_e32 v56, 0xbaee, v76
	v_fmac_f16_e32 v99, 0.5, v121
	v_fmac_f16_e32 v48, 0x3aee, v68
	v_fmac_f16_e32 v69, 0.5, v51
	v_fmac_f16_e32 v78, 0.5, v62
	v_fmac_f16_e32 v85, 0xbaee, v103
	v_fmac_f16_e32 v86, 0.5, v58
	v_fmac_f16_e32 v89, 0.5, v57
	v_mul_f16_e32 v57, -0.5, v91
	v_mul_f16_e32 v58, 0x3aee, v77
	v_fmac_f16_e32 v56, 0.5, v77
	v_sub_f16_e32 v79, v11, v12
	v_fmamk_f16 v81, v82, 0xbaee, v84
	v_fmac_f16_e32 v84, 0x3aee, v82
	v_sub_f16_e32 v82, v8, v9
	v_add_f16_e32 v95, v11, v12
	v_add_f16_e32 v96, v8, v9
	v_sub_f16_e32 v9, v52, v99
	v_sub_f16_e32 v8, v70, v48
	v_add_f16_e32 v12, v52, v99
	v_add_f16_e32 v11, v70, v48
	v_sub_f16_e32 v51, v55, v69
	v_add_f16_e32 v69, v55, v69
	v_mul_f16_e32 v55, -0.5, v92
	v_sub_f16_e32 v52, v61, v78
	v_add_f16_e32 v70, v61, v78
	v_sub_f16_e32 v78, v101, v85
	v_sub_f16_e32 v97, v54, v86
	;; [unrolled: 1-line block ×3, first 2 shown]
	v_add_f16_e32 v85, v101, v85
	v_add_f16_e32 v86, v54, v86
	v_fmac_f16_e32 v57, 0x3aee, v92
	v_fmac_f16_e32 v58, 0.5, v76
	v_add_f16_e32 v76, v59, v89
	v_sub_f16_e32 v89, v53, v56
	v_add_f16_e32 v101, v53, v56
	v_add_f16_e32 v53, v129, v117
	;; [unrolled: 1-line block ×3, first 2 shown]
	v_mul_f16_e32 v87, -0.5, v103
	v_fmac_f16_e32 v55, 0xbaee, v91
	v_sub_f16_e32 v91, v81, v57
	v_sub_f16_e32 v92, v84, v58
	v_add_f16_e32 v81, v81, v57
	v_add_f16_e32 v84, v84, v58
	;; [unrolled: 1-line block ×4, first 2 shown]
	v_mad_u64_u32 v[53:54], null, s2, v46, 0
	v_add_f16_e32 v119, v74, v75
	v_fmac_f16_e32 v87, 0x3aee, v105
	v_sub_f16_e32 v77, v90, v55
	v_add_f16_e32 v90, v90, v55
	v_sub_f16_e32 v55, v129, v130
	v_add_f16_e32 v56, v0, v74
	v_sub_f16_e32 v99, v102, v87
	v_add_f16_e32 v87, v102, v87
	v_fma_f16 v102, -0.5, v119, v0
	v_mov_b32_e32 v0, v54
	v_sub_f16_e32 v48, v60, v64
	v_add_f16_e32 v64, v60, v64
	v_add_f16_e32 v60, v56, v75
	v_fmamk_f16 v103, v55, 0xbaee, v102
	v_fmac_f16_e32 v102, 0x3aee, v55
	v_mad_u64_u32 v[54:55], null, s3, v46, v[0:1]
	v_mad_u64_u32 v[55:56], null, s2, v47, 0
	v_add_f16_e32 v59, v65, v72
	v_sub_f16_e32 v104, v57, v58
	v_add_f16_e32 v74, v57, v58
	v_mad_u64_u32 v[57:58], null, s2, v45, 0
	v_add_f16_e32 v59, v59, v73
	v_mov_b32_e32 v46, v56
	v_lshlrev_b64 v[53:54], 2, v[53:54]
	v_add_co_u32 v0, vcc_lo, s12, v16
	v_sub_f16_e32 v72, v60, v59
	v_add_f16_e32 v75, v60, v59
	v_mad_u64_u32 v[59:60], null, s2, v44, 0
	v_mad_u64_u32 v[46:47], null, s3, v47, v[46:47]
	v_add_co_ci_u32_e32 v16, vcc_lo, s13, v17, vcc_lo
	v_mov_b32_e32 v17, v58
	v_add_co_u32 v53, vcc_lo, v0, v53
	v_mul_f16_e32 v93, -0.5, v71
	v_mul_f16_e32 v94, 0xbaee, v98
	v_mul_f16_e32 v108, 0x3aee, v118
	v_add_co_ci_u32_e32 v54, vcc_lo, v16, v54, vcc_lo
	v_mad_u64_u32 v[61:62], null, s3, v45, v[17:18]
	v_pack_b32_f16 v45, v75, v74
	v_mov_b32_e32 v17, v60
	v_mov_b32_e32 v56, v46
	v_fmac_f16_e32 v93, 0xbaee, v67
	v_mul_f16_e32 v67, -0.5, v67
	v_fmac_f16_e32 v94, 0.5, v118
	v_fmac_f16_e32 v108, 0.5, v98
	global_store_dword v[53:54], v45, off
	v_mad_u64_u32 v[53:54], null, s3, v44, v[17:18]
	v_lshlrev_b64 v[45:46], 2, v[55:56]
	v_mad_u64_u32 v[54:55], null, s2, v43, 0
	v_fmac_f16_e32 v67, 0x3aee, v71
	v_add_f16_e32 v73, v80, v94
	v_add_f16_e32 v47, v102, v108
	v_mov_b32_e32 v58, v61
	v_add_co_u32 v44, vcc_lo, v0, v45
	v_sub_f16_e32 v105, v103, v67
	v_add_f16_e32 v62, v103, v67
	v_add_co_ci_u32_e32 v45, vcc_lo, v16, v46, vcc_lo
	v_pack_b32_f16 v67, v47, v73
	v_lshlrev_b64 v[46:47], 2, v[57:58]
	v_mov_b32_e32 v60, v53
	v_mov_b32_e32 v17, v55
	v_mad_u64_u32 v[56:57], null, s2, v42, 0
	v_sub_f16_e32 v68, v66, v93
	v_add_f16_e32 v66, v66, v93
	v_lshlrev_b64 v[58:59], 2, v[59:60]
	v_mad_u64_u32 v[60:61], null, s3, v43, v[17:18]
	v_add_co_u32 v46, vcc_lo, v0, v46
	v_pack_b32_f16 v53, v62, v66
	v_mad_u64_u32 v[61:62], null, s2, v40, 0
	v_mov_b32_e32 v17, v57
	v_add_co_ci_u32_e32 v47, vcc_lo, v16, v47, vcc_lo
	v_add_co_u32 v57, vcc_lo, v0, v58
	v_mad_u64_u32 v[42:43], null, s3, v42, v[17:18]
	v_add_co_ci_u32_e32 v58, vcc_lo, v16, v59, vcc_lo
	v_pack_b32_f16 v43, v72, v104
	v_mov_b32_e32 v55, v60
	v_mov_b32_e32 v17, v62
	global_store_dword v[44:45], v67, off
	global_store_dword v[46:47], v53, off
	v_sub_f16_e32 v71, v80, v94
	global_store_dword v[57:58], v43, off
	v_lshlrev_b64 v[43:44], 2, v[54:55]
	v_mad_u64_u32 v[45:46], null, s3, v40, v[17:18]
	v_mad_u64_u32 v[46:47], null, s2, v39, 0
	v_mov_b32_e32 v57, v42
	v_add_co_u32 v42, vcc_lo, v0, v43
	v_add_co_ci_u32_e32 v43, vcc_lo, v16, v44, vcc_lo
	v_mov_b32_e32 v62, v45
	v_mad_u64_u32 v[44:45], null, s2, v41, 0
	v_mov_b32_e32 v17, v47
	v_lshlrev_b64 v[53:54], 2, v[56:57]
	v_mad_u64_u32 v[57:58], null, s2, v38, 0
	v_lshlrev_b64 v[55:56], 2, v[61:62]
	v_mad_u64_u32 v[39:40], null, s3, v39, v[17:18]
	v_mov_b32_e32 v17, v45
	v_sub_f16_e32 v65, v102, v108
	v_add_co_u32 v53, vcc_lo, v0, v53
	v_add_co_ci_u32_e32 v54, vcc_lo, v16, v54, vcc_lo
	v_mad_u64_u32 v[40:41], null, s3, v41, v[17:18]
	v_mov_b32_e32 v17, v58
	v_mov_b32_e32 v47, v39
	v_add_co_u32 v55, vcc_lo, v0, v55
	v_pack_b32_f16 v59, v65, v71
	v_mad_u64_u32 v[38:39], null, s3, v38, v[17:18]
	v_mov_b32_e32 v45, v40
	v_mad_u64_u32 v[39:40], null, s2, v36, 0
	v_add_co_ci_u32_e32 v56, vcc_lo, v16, v56, vcc_lo
	v_pack_b32_f16 v41, v96, v95
	v_pack_b32_f16 v60, v105, v68
	global_store_dword v[42:43], v59, off
	global_store_dword v[53:54], v60, off
	global_store_dword v[55:56], v41, off
	v_lshlrev_b64 v[41:42], 2, v[46:47]
	v_lshlrev_b64 v[43:44], 2, v[44:45]
	v_mov_b32_e32 v17, v40
	v_mad_u64_u32 v[45:46], null, s2, v37, 0
	v_mov_b32_e32 v58, v38
	v_add_co_u32 v41, vcc_lo, v0, v41
	v_mad_u64_u32 v[55:56], null, s3, v36, v[17:18]
	v_lshlrev_b64 v[53:54], 2, v[57:58]
	v_mad_u64_u32 v[56:57], null, s2, v34, 0
	v_add_co_ci_u32_e32 v42, vcc_lo, v16, v42, vcc_lo
	v_mov_b32_e32 v17, v46
	v_add_co_u32 v43, vcc_lo, v0, v43
	v_add_co_ci_u32_e32 v44, vcc_lo, v16, v44, vcc_lo
	v_add_co_u32 v46, vcc_lo, v0, v53
	v_mad_u64_u32 v[36:37], null, s3, v37, v[17:18]
	v_pack_b32_f16 v59, v84, v101
	v_add_co_ci_u32_e32 v47, vcc_lo, v16, v54, vcc_lo
	v_pack_b32_f16 v37, v82, v79
	v_mov_b32_e32 v40, v55
	v_mov_b32_e32 v17, v57
	v_pack_b32_f16 v38, v81, v90
	global_store_dword v[41:42], v59, off
	global_store_dword v[43:44], v38, off
	global_store_dword v[46:47], v37, off
	v_lshlrev_b64 v[37:38], 2, v[39:40]
	v_mad_u64_u32 v[39:40], null, s3, v34, v[17:18]
	v_mad_u64_u32 v[40:41], null, s2, v35, 0
	v_mov_b32_e32 v46, v36
	v_add_co_u32 v36, vcc_lo, v0, v37
	v_add_co_ci_u32_e32 v37, vcc_lo, v16, v38, vcc_lo
	v_mov_b32_e32 v57, v39
	v_mad_u64_u32 v[38:39], null, s2, v32, 0
	v_lshlrev_b64 v[42:43], 2, v[45:46]
	v_mov_b32_e32 v17, v41
	v_lshlrev_b64 v[44:45], 2, v[56:57]
	v_mad_u64_u32 v[46:47], null, s2, v33, 0
	v_pack_b32_f16 v55, v92, v89
	v_add_co_u32 v42, vcc_lo, v0, v42
	v_mad_u64_u32 v[34:35], null, s3, v35, v[17:18]
	v_mov_b32_e32 v17, v39
	v_add_co_ci_u32_e32 v43, vcc_lo, v16, v43, vcc_lo
	v_add_co_u32 v44, vcc_lo, v0, v44
	v_add_co_ci_u32_e32 v45, vcc_lo, v16, v45, vcc_lo
	v_mad_u64_u32 v[53:54], null, s3, v32, v[17:18]
	v_pack_b32_f16 v32, v107, v106
	v_mov_b32_e32 v17, v47
	v_pack_b32_f16 v58, v91, v77
	global_store_dword v[36:37], v55, off
	global_store_dword v[42:43], v58, off
	;; [unrolled: 1-line block ×3, first 2 shown]
	v_mad_u64_u32 v[32:33], null, s3, v33, v[17:18]
	v_mov_b32_e32 v41, v34
	v_mad_u64_u32 v[36:37], null, s2, v31, 0
	v_mov_b32_e32 v39, v53
	v_mad_u64_u32 v[44:45], null, s2, v28, 0
	v_lshlrev_b64 v[34:35], 2, v[40:41]
	v_mov_b32_e32 v47, v32
	v_mad_u64_u32 v[40:41], null, s2, v30, 0
	v_lshlrev_b64 v[38:39], 2, v[38:39]
	v_mov_b32_e32 v17, v37
	v_add_co_u32 v33, vcc_lo, v0, v34
	v_lshlrev_b64 v[42:43], 2, v[46:47]
	v_add_co_ci_u32_e32 v34, vcc_lo, v16, v35, vcc_lo
	v_add_co_u32 v38, vcc_lo, v0, v38
	v_mad_u64_u32 v[31:32], null, s3, v31, v[17:18]
	v_mov_b32_e32 v17, v41
	v_add_co_ci_u32_e32 v39, vcc_lo, v16, v39, vcc_lo
	v_add_co_u32 v41, vcc_lo, v0, v42
	v_pack_b32_f16 v35, v76, v86
	v_add_co_ci_u32_e32 v42, vcc_lo, v16, v43, vcc_lo
	v_mad_u64_u32 v[46:47], null, s3, v30, v[17:18]
	v_pack_b32_f16 v32, v83, v88
	v_mov_b32_e32 v17, v45
	v_pack_b32_f16 v53, v87, v85
	v_mov_b32_e32 v37, v31
	global_store_dword v[33:34], v35, off
	global_store_dword v[38:39], v53, off
	;; [unrolled: 1-line block ×3, first 2 shown]
	v_mad_u64_u32 v[32:33], null, s3, v28, v[17:18]
	v_lshlrev_b64 v[30:31], 2, v[36:37]
	v_mov_b32_e32 v41, v46
	v_mad_u64_u32 v[35:36], null, s2, v29, 0
	v_mad_u64_u32 v[38:39], null, s2, v27, 0
	v_mov_b32_e32 v45, v32
	v_lshlrev_b64 v[33:34], 2, v[40:41]
	v_add_co_u32 v30, vcc_lo, v0, v30
	v_mov_b32_e32 v17, v36
	v_lshlrev_b64 v[36:37], 2, v[44:45]
	v_add_co_ci_u32_e32 v31, vcc_lo, v16, v31, vcc_lo
	v_add_co_u32 v32, vcc_lo, v0, v33
	v_add_co_ci_u32_e32 v33, vcc_lo, v16, v34, vcc_lo
	v_pack_b32_f16 v46, v100, v97
	v_mad_u64_u32 v[28:29], null, s3, v29, v[17:18]
	v_add_co_u32 v40, vcc_lo, v0, v36
	v_mad_u64_u32 v[42:43], null, s2, v25, 0
	v_pack_b32_f16 v34, v99, v78
	v_add_co_ci_u32_e32 v41, vcc_lo, v16, v37, vcc_lo
	v_pack_b32_f16 v29, v50, v49
	v_mov_b32_e32 v17, v39
	global_store_dword v[30:31], v46, off
	global_store_dword v[32:33], v34, off
	;; [unrolled: 1-line block ×3, first 2 shown]
	v_mad_u64_u32 v[30:31], null, s2, v26, 0
	v_mov_b32_e32 v36, v28
	v_mad_u64_u32 v[27:28], null, s3, v27, v[17:18]
	v_mov_b32_e32 v17, v43
	v_pack_b32_f16 v41, v69, v70
	v_lshlrev_b64 v[28:29], 2, v[35:36]
	v_mad_u64_u32 v[35:36], null, s2, v24, 0
	v_mad_u64_u32 v[32:33], null, s3, v25, v[17:18]
	v_mov_b32_e32 v17, v31
	v_mov_b32_e32 v39, v27
	v_add_co_u32 v27, vcc_lo, v0, v28
	v_add_co_ci_u32_e32 v28, vcc_lo, v16, v29, vcc_lo
	v_mad_u64_u32 v[25:26], null, s3, v26, v[17:18]
	v_mov_b32_e32 v17, v36
	v_mov_b32_e32 v43, v32
	v_lshlrev_b64 v[33:34], 2, v[38:39]
	v_mad_u64_u32 v[39:40], null, s2, v21, 0
	v_pack_b32_f16 v10, v6, v10
	v_mov_b32_e32 v31, v25
	v_mad_u64_u32 v[25:26], null, s2, v23, 0
	v_lshlrev_b64 v[37:38], 2, v[42:43]
	v_add_co_u32 v32, vcc_lo, v0, v33
	v_lshlrev_b64 v[29:30], 2, v[30:31]
	v_pack_b32_f16 v31, v14, v13
	v_mad_u64_u32 v[13:14], null, s3, v24, v[17:18]
	v_mov_b32_e32 v14, v26
	v_add_co_ci_u32_e32 v33, vcc_lo, v16, v34, vcc_lo
	v_add_co_u32 v37, vcc_lo, v0, v37
	v_mad_u64_u32 v[23:24], null, s3, v23, v[14:15]
	v_add_co_ci_u32_e32 v38, vcc_lo, v16, v38, vcc_lo
	v_pack_b32_f16 v34, v64, v63
	v_add_co_u32 v29, vcc_lo, v0, v29
	v_add_co_ci_u32_e32 v30, vcc_lo, v16, v30, vcc_lo
	v_pack_b32_f16 v17, v51, v52
	v_mov_b32_e32 v26, v23
	v_mad_u64_u32 v[23:24], null, s2, v22, 0
	v_mov_b32_e32 v36, v13
	global_store_dword v[27:28], v41, off
	global_store_dword v[32:33], v34, off
	;; [unrolled: 1-line block ×4, first 2 shown]
	v_mov_b32_e32 v17, v40
	v_pack_b32_f16 v32, v48, v15
	v_lshlrev_b64 v[25:26], 2, v[25:26]
	v_lshlrev_b64 v[13:14], 2, v[35:36]
	v_mov_b32_e32 v15, v24
	v_mad_u64_u32 v[27:28], null, s3, v21, v[17:18]
	v_mad_u64_u32 v[28:29], null, s2, v20, 0
	v_add_co_u32 v13, vcc_lo, v0, v13
	v_mad_u64_u32 v[21:22], null, s3, v22, v[15:16]
	v_add_co_ci_u32_e32 v14, vcc_lo, v16, v14, vcc_lo
	v_add_co_u32 v24, vcc_lo, v0, v25
	v_mov_b32_e32 v6, v29
	v_mad_u64_u32 v[30:31], null, s2, v18, 0
	v_add_co_ci_u32_e32 v25, vcc_lo, v16, v26, vcc_lo
	v_mov_b32_e32 v40, v27
	v_mad_u64_u32 v[26:27], null, s3, v20, v[6:7]
	global_store_dword v[13:14], v32, off
	global_store_dword v[24:25], v10, off
	v_mov_b32_e32 v24, v21
	v_mad_u64_u32 v[20:21], null, s2, v19, 0
	v_mov_b32_e32 v6, v31
	v_lshlrev_b64 v[13:14], 2, v[39:40]
	v_pack_b32_f16 v12, v7, v12
	v_mov_b32_e32 v29, v26
	v_pack_b32_f16 v15, v11, v4
	v_mad_u64_u32 v[17:18], null, s3, v18, v[6:7]
	v_mov_b32_e32 v6, v21
	v_lshlrev_b64 v[21:22], 2, v[23:24]
	v_add_co_u32 v13, vcc_lo, v0, v13
	v_add_co_ci_u32_e32 v14, vcc_lo, v16, v14, vcc_lo
	v_mad_u64_u32 v[6:7], null, s3, v19, v[6:7]
	v_mov_b32_e32 v31, v17
	v_lshlrev_b64 v[23:24], 2, v[28:29]
	v_add_co_u32 v17, vcc_lo, v0, v21
	v_add_co_ci_u32_e32 v18, vcc_lo, v16, v22, vcc_lo
	v_mov_b32_e32 v21, v6
	v_lshlrev_b64 v[10:11], 2, v[30:31]
	v_add_co_u32 v6, vcc_lo, v0, v23
	v_pack_b32_f16 v5, v5, v3
	v_lshlrev_b64 v[3:4], 2, v[20:21]
	v_add_co_ci_u32_e32 v7, vcc_lo, v16, v24, vcc_lo
	v_add_co_u32 v10, vcc_lo, v0, v10
	v_add_co_ci_u32_e32 v11, vcc_lo, v16, v11, vcc_lo
	v_pack_b32_f16 v9, v2, v9
	v_add_co_u32 v2, vcc_lo, v0, v3
	v_add_co_ci_u32_e32 v3, vcc_lo, v16, v4, vcc_lo
	v_pack_b32_f16 v0, v8, v1
	global_store_dword v[13:14], v12, off
	global_store_dword v[17:18], v15, off
	global_store_dword v[6:7], v5, off
	global_store_dword v[10:11], v9, off
	global_store_dword v[2:3], v0, off
.LBB0_23:
	s_endpgm
	.section	.rodata,"a",@progbits
	.p2align	6, 0x0
	.amdhsa_kernel fft_rtc_fwd_len480_factors_10_8_6_wgs_64_tpt_16_halfLds_half_ip_CI_sbrr_dirReg
		.amdhsa_group_segment_fixed_size 0
		.amdhsa_private_segment_fixed_size 0
		.amdhsa_kernarg_size 88
		.amdhsa_user_sgpr_count 6
		.amdhsa_user_sgpr_private_segment_buffer 1
		.amdhsa_user_sgpr_dispatch_ptr 0
		.amdhsa_user_sgpr_queue_ptr 0
		.amdhsa_user_sgpr_kernarg_segment_ptr 1
		.amdhsa_user_sgpr_dispatch_id 0
		.amdhsa_user_sgpr_flat_scratch_init 0
		.amdhsa_user_sgpr_private_segment_size 0
		.amdhsa_wavefront_size32 1
		.amdhsa_uses_dynamic_stack 0
		.amdhsa_system_sgpr_private_segment_wavefront_offset 0
		.amdhsa_system_sgpr_workgroup_id_x 1
		.amdhsa_system_sgpr_workgroup_id_y 0
		.amdhsa_system_sgpr_workgroup_id_z 0
		.amdhsa_system_sgpr_workgroup_info 0
		.amdhsa_system_vgpr_workitem_id 0
		.amdhsa_next_free_vgpr 173
		.amdhsa_next_free_sgpr 23
		.amdhsa_reserve_vcc 1
		.amdhsa_reserve_flat_scratch 0
		.amdhsa_float_round_mode_32 0
		.amdhsa_float_round_mode_16_64 0
		.amdhsa_float_denorm_mode_32 3
		.amdhsa_float_denorm_mode_16_64 3
		.amdhsa_dx10_clamp 1
		.amdhsa_ieee_mode 1
		.amdhsa_fp16_overflow 0
		.amdhsa_workgroup_processor_mode 1
		.amdhsa_memory_ordered 1
		.amdhsa_forward_progress 0
		.amdhsa_shared_vgpr_count 0
		.amdhsa_exception_fp_ieee_invalid_op 0
		.amdhsa_exception_fp_denorm_src 0
		.amdhsa_exception_fp_ieee_div_zero 0
		.amdhsa_exception_fp_ieee_overflow 0
		.amdhsa_exception_fp_ieee_underflow 0
		.amdhsa_exception_fp_ieee_inexact 0
		.amdhsa_exception_int_div_zero 0
	.end_amdhsa_kernel
	.text
.Lfunc_end0:
	.size	fft_rtc_fwd_len480_factors_10_8_6_wgs_64_tpt_16_halfLds_half_ip_CI_sbrr_dirReg, .Lfunc_end0-fft_rtc_fwd_len480_factors_10_8_6_wgs_64_tpt_16_halfLds_half_ip_CI_sbrr_dirReg
                                        ; -- End function
	.section	.AMDGPU.csdata,"",@progbits
; Kernel info:
; codeLenInByte = 15004
; NumSgprs: 25
; NumVgprs: 173
; ScratchSize: 0
; MemoryBound: 0
; FloatMode: 240
; IeeeMode: 1
; LDSByteSize: 0 bytes/workgroup (compile time only)
; SGPRBlocks: 3
; VGPRBlocks: 21
; NumSGPRsForWavesPerEU: 25
; NumVGPRsForWavesPerEU: 173
; Occupancy: 5
; WaveLimiterHint : 1
; COMPUTE_PGM_RSRC2:SCRATCH_EN: 0
; COMPUTE_PGM_RSRC2:USER_SGPR: 6
; COMPUTE_PGM_RSRC2:TRAP_HANDLER: 0
; COMPUTE_PGM_RSRC2:TGID_X_EN: 1
; COMPUTE_PGM_RSRC2:TGID_Y_EN: 0
; COMPUTE_PGM_RSRC2:TGID_Z_EN: 0
; COMPUTE_PGM_RSRC2:TIDIG_COMP_CNT: 0
	.text
	.p2alignl 6, 3214868480
	.fill 48, 4, 3214868480
	.type	__hip_cuid_e59f4d285b66e205,@object ; @__hip_cuid_e59f4d285b66e205
	.section	.bss,"aw",@nobits
	.globl	__hip_cuid_e59f4d285b66e205
__hip_cuid_e59f4d285b66e205:
	.byte	0                               ; 0x0
	.size	__hip_cuid_e59f4d285b66e205, 1

	.ident	"AMD clang version 19.0.0git (https://github.com/RadeonOpenCompute/llvm-project roc-6.4.0 25133 c7fe45cf4b819c5991fe208aaa96edf142730f1d)"
	.section	".note.GNU-stack","",@progbits
	.addrsig
	.addrsig_sym __hip_cuid_e59f4d285b66e205
	.amdgpu_metadata
---
amdhsa.kernels:
  - .args:
      - .actual_access:  read_only
        .address_space:  global
        .offset:         0
        .size:           8
        .value_kind:     global_buffer
      - .offset:         8
        .size:           8
        .value_kind:     by_value
      - .actual_access:  read_only
        .address_space:  global
        .offset:         16
        .size:           8
        .value_kind:     global_buffer
      - .actual_access:  read_only
        .address_space:  global
        .offset:         24
        .size:           8
        .value_kind:     global_buffer
      - .offset:         32
        .size:           8
        .value_kind:     by_value
      - .actual_access:  read_only
        .address_space:  global
        .offset:         40
        .size:           8
        .value_kind:     global_buffer
      - .actual_access:  read_only
        .address_space:  global
        .offset:         48
        .size:           8
        .value_kind:     global_buffer
      - .offset:         56
        .size:           4
        .value_kind:     by_value
      - .actual_access:  read_only
        .address_space:  global
        .offset:         64
        .size:           8
        .value_kind:     global_buffer
      - .actual_access:  read_only
        .address_space:  global
        .offset:         72
        .size:           8
        .value_kind:     global_buffer
      - .address_space:  global
        .offset:         80
        .size:           8
        .value_kind:     global_buffer
    .group_segment_fixed_size: 0
    .kernarg_segment_align: 8
    .kernarg_segment_size: 88
    .language:       OpenCL C
    .language_version:
      - 2
      - 0
    .max_flat_workgroup_size: 64
    .name:           fft_rtc_fwd_len480_factors_10_8_6_wgs_64_tpt_16_halfLds_half_ip_CI_sbrr_dirReg
    .private_segment_fixed_size: 0
    .sgpr_count:     25
    .sgpr_spill_count: 0
    .symbol:         fft_rtc_fwd_len480_factors_10_8_6_wgs_64_tpt_16_halfLds_half_ip_CI_sbrr_dirReg.kd
    .uniform_work_group_size: 1
    .uses_dynamic_stack: false
    .vgpr_count:     173
    .vgpr_spill_count: 0
    .wavefront_size: 32
    .workgroup_processor_mode: 1
amdhsa.target:   amdgcn-amd-amdhsa--gfx1030
amdhsa.version:
  - 1
  - 2
...

	.end_amdgpu_metadata
